;; amdgpu-corpus repo=ROCm/rocFFT kind=compiled arch=gfx1030 opt=O3
	.text
	.amdgcn_target "amdgcn-amd-amdhsa--gfx1030"
	.amdhsa_code_object_version 6
	.protected	fft_rtc_back_len546_factors_13_3_7_2_wgs_117_tpt_39_halfLds_dp_op_CI_CI_unitstride_sbrr_dirReg ; -- Begin function fft_rtc_back_len546_factors_13_3_7_2_wgs_117_tpt_39_halfLds_dp_op_CI_CI_unitstride_sbrr_dirReg
	.globl	fft_rtc_back_len546_factors_13_3_7_2_wgs_117_tpt_39_halfLds_dp_op_CI_CI_unitstride_sbrr_dirReg
	.p2align	8
	.type	fft_rtc_back_len546_factors_13_3_7_2_wgs_117_tpt_39_halfLds_dp_op_CI_CI_unitstride_sbrr_dirReg,@function
fft_rtc_back_len546_factors_13_3_7_2_wgs_117_tpt_39_halfLds_dp_op_CI_CI_unitstride_sbrr_dirReg: ; @fft_rtc_back_len546_factors_13_3_7_2_wgs_117_tpt_39_halfLds_dp_op_CI_CI_unitstride_sbrr_dirReg
; %bb.0:
	s_load_dwordx4 s[12:15], s[4:5], 0x0
	v_mul_u32_u24_e32 v1, 0x691, v0
	s_clause 0x1
	s_load_dwordx4 s[8:11], s[4:5], 0x58
	s_load_dwordx4 s[16:19], s[4:5], 0x18
	v_mov_b32_e32 v4, 0
	v_mov_b32_e32 v5, 0
	v_lshrrev_b32_e32 v2, 16, v1
	v_mov_b32_e32 v1, 0
	v_mov_b32_e32 v129, v5
	;; [unrolled: 1-line block ×3, first 2 shown]
	v_mad_u64_u32 v[104:105], null, s6, 3, v[2:3]
	v_mov_b32_e32 v105, v1
	v_mov_b32_e32 v133, v105
	;; [unrolled: 1-line block ×3, first 2 shown]
	s_waitcnt lgkmcnt(0)
	v_cmp_lt_u64_e64 s0, s[14:15], 2
	s_and_b32 vcc_lo, exec_lo, s0
	s_cbranch_vccnz .LBB0_8
; %bb.1:
	s_load_dwordx2 s[0:1], s[4:5], 0x10
	v_mov_b32_e32 v4, 0
	v_mov_b32_e32 v5, 0
	s_add_u32 s2, s18, 8
	v_mov_b32_e32 v6, v104
	s_addc_u32 s3, s19, 0
	v_mov_b32_e32 v7, v105
	v_mov_b32_e32 v129, v5
	s_add_u32 s6, s16, 8
	v_mov_b32_e32 v128, v4
	s_addc_u32 s7, s17, 0
	s_mov_b64 s[22:23], 1
	s_waitcnt lgkmcnt(0)
	s_add_u32 s20, s0, 8
	s_addc_u32 s21, s1, 0
.LBB0_2:                                ; =>This Inner Loop Header: Depth=1
	s_load_dwordx2 s[24:25], s[20:21], 0x0
                                        ; implicit-def: $vgpr132_vgpr133
	s_mov_b32 s0, exec_lo
	s_waitcnt lgkmcnt(0)
	v_or_b32_e32 v2, s25, v7
	v_cmpx_ne_u64_e32 0, v[1:2]
	s_xor_b32 s1, exec_lo, s0
	s_cbranch_execz .LBB0_4
; %bb.3:                                ;   in Loop: Header=BB0_2 Depth=1
	v_cvt_f32_u32_e32 v2, s24
	v_cvt_f32_u32_e32 v3, s25
	s_sub_u32 s0, 0, s24
	s_subb_u32 s26, 0, s25
	v_fmac_f32_e32 v2, 0x4f800000, v3
	v_rcp_f32_e32 v2, v2
	v_mul_f32_e32 v2, 0x5f7ffffc, v2
	v_mul_f32_e32 v3, 0x2f800000, v2
	v_trunc_f32_e32 v3, v3
	v_fmac_f32_e32 v2, 0xcf800000, v3
	v_cvt_u32_f32_e32 v3, v3
	v_cvt_u32_f32_e32 v2, v2
	v_mul_lo_u32 v8, s0, v3
	v_mul_hi_u32 v9, s0, v2
	v_mul_lo_u32 v10, s26, v2
	v_add_nc_u32_e32 v8, v9, v8
	v_mul_lo_u32 v9, s0, v2
	v_add_nc_u32_e32 v8, v8, v10
	v_mul_hi_u32 v10, v2, v9
	v_mul_lo_u32 v11, v2, v8
	v_mul_hi_u32 v12, v2, v8
	v_mul_hi_u32 v13, v3, v9
	v_mul_lo_u32 v9, v3, v9
	v_mul_hi_u32 v14, v3, v8
	v_mul_lo_u32 v8, v3, v8
	v_add_co_u32 v10, vcc_lo, v10, v11
	v_add_co_ci_u32_e32 v11, vcc_lo, 0, v12, vcc_lo
	v_add_co_u32 v9, vcc_lo, v10, v9
	v_add_co_ci_u32_e32 v9, vcc_lo, v11, v13, vcc_lo
	v_add_co_ci_u32_e32 v10, vcc_lo, 0, v14, vcc_lo
	v_add_co_u32 v8, vcc_lo, v9, v8
	v_add_co_ci_u32_e32 v9, vcc_lo, 0, v10, vcc_lo
	v_add_co_u32 v2, vcc_lo, v2, v8
	v_add_co_ci_u32_e32 v3, vcc_lo, v3, v9, vcc_lo
	v_mul_hi_u32 v8, s0, v2
	v_mul_lo_u32 v10, s26, v2
	v_mul_lo_u32 v9, s0, v3
	v_add_nc_u32_e32 v8, v8, v9
	v_mul_lo_u32 v9, s0, v2
	v_add_nc_u32_e32 v8, v8, v10
	v_mul_hi_u32 v10, v2, v9
	v_mul_lo_u32 v11, v2, v8
	v_mul_hi_u32 v12, v2, v8
	v_mul_hi_u32 v13, v3, v9
	v_mul_lo_u32 v9, v3, v9
	v_mul_hi_u32 v14, v3, v8
	v_mul_lo_u32 v8, v3, v8
	v_add_co_u32 v10, vcc_lo, v10, v11
	v_add_co_ci_u32_e32 v11, vcc_lo, 0, v12, vcc_lo
	v_add_co_u32 v9, vcc_lo, v10, v9
	v_add_co_ci_u32_e32 v9, vcc_lo, v11, v13, vcc_lo
	v_add_co_ci_u32_e32 v10, vcc_lo, 0, v14, vcc_lo
	v_add_co_u32 v8, vcc_lo, v9, v8
	v_add_co_ci_u32_e32 v9, vcc_lo, 0, v10, vcc_lo
	v_add_co_u32 v8, vcc_lo, v2, v8
	v_add_co_ci_u32_e32 v10, vcc_lo, v3, v9, vcc_lo
	v_mul_hi_u32 v12, v6, v8
	v_mad_u64_u32 v[8:9], null, v7, v8, 0
	v_mad_u64_u32 v[2:3], null, v6, v10, 0
	;; [unrolled: 1-line block ×3, first 2 shown]
	v_add_co_u32 v2, vcc_lo, v12, v2
	v_add_co_ci_u32_e32 v3, vcc_lo, 0, v3, vcc_lo
	v_add_co_u32 v2, vcc_lo, v2, v8
	v_add_co_ci_u32_e32 v2, vcc_lo, v3, v9, vcc_lo
	v_add_co_ci_u32_e32 v3, vcc_lo, 0, v11, vcc_lo
	v_add_co_u32 v8, vcc_lo, v2, v10
	v_add_co_ci_u32_e32 v9, vcc_lo, 0, v3, vcc_lo
	v_mul_lo_u32 v10, s25, v8
	v_mad_u64_u32 v[2:3], null, s24, v8, 0
	v_mul_lo_u32 v11, s24, v9
	v_sub_co_u32 v2, vcc_lo, v6, v2
	v_add3_u32 v3, v3, v11, v10
	v_sub_nc_u32_e32 v10, v7, v3
	v_subrev_co_ci_u32_e64 v10, s0, s25, v10, vcc_lo
	v_add_co_u32 v11, s0, v8, 2
	v_add_co_ci_u32_e64 v12, s0, 0, v9, s0
	v_sub_co_u32 v13, s0, v2, s24
	v_sub_co_ci_u32_e32 v3, vcc_lo, v7, v3, vcc_lo
	v_subrev_co_ci_u32_e64 v10, s0, 0, v10, s0
	v_cmp_le_u32_e32 vcc_lo, s24, v13
	v_cmp_eq_u32_e64 s0, s25, v3
	v_cndmask_b32_e64 v13, 0, -1, vcc_lo
	v_cmp_le_u32_e32 vcc_lo, s25, v10
	v_cndmask_b32_e64 v14, 0, -1, vcc_lo
	v_cmp_le_u32_e32 vcc_lo, s24, v2
	;; [unrolled: 2-line block ×3, first 2 shown]
	v_cndmask_b32_e64 v15, 0, -1, vcc_lo
	v_cmp_eq_u32_e32 vcc_lo, s25, v10
	v_cndmask_b32_e64 v2, v15, v2, s0
	v_cndmask_b32_e32 v10, v14, v13, vcc_lo
	v_add_co_u32 v13, vcc_lo, v8, 1
	v_add_co_ci_u32_e32 v14, vcc_lo, 0, v9, vcc_lo
	v_cmp_ne_u32_e32 vcc_lo, 0, v10
	v_cndmask_b32_e32 v3, v14, v12, vcc_lo
	v_cndmask_b32_e32 v10, v13, v11, vcc_lo
	v_cmp_ne_u32_e32 vcc_lo, 0, v2
	v_cndmask_b32_e32 v133, v9, v3, vcc_lo
	v_cndmask_b32_e32 v132, v8, v10, vcc_lo
.LBB0_4:                                ;   in Loop: Header=BB0_2 Depth=1
	s_andn2_saveexec_b32 s0, s1
	s_cbranch_execz .LBB0_6
; %bb.5:                                ;   in Loop: Header=BB0_2 Depth=1
	v_cvt_f32_u32_e32 v2, s24
	s_sub_i32 s1, 0, s24
	v_mov_b32_e32 v133, v1
	v_rcp_iflag_f32_e32 v2, v2
	v_mul_f32_e32 v2, 0x4f7ffffe, v2
	v_cvt_u32_f32_e32 v2, v2
	v_mul_lo_u32 v3, s1, v2
	v_mul_hi_u32 v3, v2, v3
	v_add_nc_u32_e32 v2, v2, v3
	v_mul_hi_u32 v2, v6, v2
	v_mul_lo_u32 v3, v2, s24
	v_add_nc_u32_e32 v8, 1, v2
	v_sub_nc_u32_e32 v3, v6, v3
	v_subrev_nc_u32_e32 v9, s24, v3
	v_cmp_le_u32_e32 vcc_lo, s24, v3
	v_cndmask_b32_e32 v3, v3, v9, vcc_lo
	v_cndmask_b32_e32 v2, v2, v8, vcc_lo
	v_cmp_le_u32_e32 vcc_lo, s24, v3
	v_add_nc_u32_e32 v8, 1, v2
	v_cndmask_b32_e32 v132, v2, v8, vcc_lo
.LBB0_6:                                ;   in Loop: Header=BB0_2 Depth=1
	s_or_b32 exec_lo, exec_lo, s0
	v_mul_lo_u32 v8, v133, s24
	v_mul_lo_u32 v9, v132, s25
	s_load_dwordx2 s[0:1], s[6:7], 0x0
	v_mad_u64_u32 v[2:3], null, v132, s24, 0
	s_load_dwordx2 s[24:25], s[2:3], 0x0
	s_add_u32 s22, s22, 1
	s_addc_u32 s23, s23, 0
	s_add_u32 s2, s2, 8
	s_addc_u32 s3, s3, 0
	s_add_u32 s6, s6, 8
	v_add3_u32 v3, v3, v9, v8
	v_sub_co_u32 v2, vcc_lo, v6, v2
	s_addc_u32 s7, s7, 0
	s_add_u32 s20, s20, 8
	v_sub_co_ci_u32_e32 v3, vcc_lo, v7, v3, vcc_lo
	s_addc_u32 s21, s21, 0
	s_waitcnt lgkmcnt(0)
	v_mul_lo_u32 v6, s0, v3
	v_mul_lo_u32 v7, s1, v2
	v_mad_u64_u32 v[4:5], null, s0, v2, v[4:5]
	v_mul_lo_u32 v3, s24, v3
	v_mul_lo_u32 v8, s25, v2
	v_mad_u64_u32 v[128:129], null, s24, v2, v[128:129]
	v_cmp_ge_u64_e64 s0, s[22:23], s[14:15]
	v_add3_u32 v5, v7, v5, v6
	v_add3_u32 v129, v8, v129, v3
	s_and_b32 vcc_lo, exec_lo, s0
	s_cbranch_vccnz .LBB0_8
; %bb.7:                                ;   in Loop: Header=BB0_2 Depth=1
	v_mov_b32_e32 v6, v132
	v_mov_b32_e32 v7, v133
	s_branch .LBB0_2
.LBB0_8:
	s_load_dwordx2 s[0:1], s[4:5], 0x28
	v_mul_hi_u32 v1, 0x6906907, v0
	s_lshl_b64 s[4:5], s[14:15], 3
                                        ; implicit-def: $vgpr130
	s_add_u32 s2, s18, s4
	s_addc_u32 s3, s19, s5
	s_waitcnt lgkmcnt(0)
	v_cmp_gt_u64_e32 vcc_lo, s[0:1], v[132:133]
	v_cmp_le_u64_e64 s0, s[0:1], v[132:133]
	s_and_saveexec_b32 s1, s0
	s_xor_b32 s0, exec_lo, s1
; %bb.9:
	v_mul_u32_u24_e32 v1, 39, v1
                                        ; implicit-def: $vgpr4_vgpr5
	v_sub_nc_u32_e32 v130, v0, v1
                                        ; implicit-def: $vgpr1
                                        ; implicit-def: $vgpr0
; %bb.10:
	s_or_saveexec_b32 s1, s0
	s_load_dwordx2 s[2:3], s[2:3], 0x0
                                        ; implicit-def: $vgpr46_vgpr47
                                        ; implicit-def: $vgpr50_vgpr51
                                        ; implicit-def: $vgpr54_vgpr55
                                        ; implicit-def: $vgpr62_vgpr63
                                        ; implicit-def: $vgpr78_vgpr79
                                        ; implicit-def: $vgpr34_vgpr35
                                        ; implicit-def: $vgpr30_vgpr31
                                        ; implicit-def: $vgpr66_vgpr67
                                        ; implicit-def: $vgpr74_vgpr75
                                        ; implicit-def: $vgpr82_vgpr83
                                        ; implicit-def: $vgpr86_vgpr87
                                        ; implicit-def: $vgpr94_vgpr95
                                        ; implicit-def: $vgpr2_vgpr3
                                        ; implicit-def: $vgpr6_vgpr7
                                        ; implicit-def: $vgpr18_vgpr19
                                        ; implicit-def: $vgpr22_vgpr23
                                        ; implicit-def: $vgpr26_vgpr27
                                        ; implicit-def: $vgpr42_vgpr43
                                        ; implicit-def: $vgpr14_vgpr15
                                        ; implicit-def: $vgpr10_vgpr11
                                        ; implicit-def: $vgpr58_vgpr59
                                        ; implicit-def: $vgpr70_vgpr71
                                        ; implicit-def: $vgpr90_vgpr91
                                        ; implicit-def: $vgpr98_vgpr99
                                        ; implicit-def: $vgpr102_vgpr103
                                        ; implicit-def: $vgpr38_vgpr39
	s_xor_b32 exec_lo, exec_lo, s1
	s_cbranch_execz .LBB0_14
; %bb.11:
	s_add_u32 s4, s16, s4
	s_addc_u32 s5, s17, s5
                                        ; implicit-def: $vgpr92_vgpr93
                                        ; implicit-def: $vgpr84_vgpr85
                                        ; implicit-def: $vgpr80_vgpr81
                                        ; implicit-def: $vgpr72_vgpr73
                                        ; implicit-def: $vgpr64_vgpr65
                                        ; implicit-def: $vgpr28_vgpr29
                                        ; implicit-def: $vgpr32_vgpr33
                                        ; implicit-def: $vgpr76_vgpr77
                                        ; implicit-def: $vgpr60_vgpr61
                                        ; implicit-def: $vgpr52_vgpr53
                                        ; implicit-def: $vgpr48_vgpr49
                                        ; implicit-def: $vgpr44_vgpr45
	s_load_dwordx2 s[4:5], s[4:5], 0x0
	s_waitcnt lgkmcnt(0)
	v_mul_lo_u32 v6, s5, v132
	v_mul_lo_u32 v7, s4, v133
	v_mad_u64_u32 v[2:3], null, s4, v132, 0
	s_mov_b32 s4, exec_lo
	v_add3_u32 v3, v3, v7, v6
	v_mul_u32_u24_e32 v6, 39, v1
	v_lshlrev_b64 v[1:2], 4, v[2:3]
	v_lshlrev_b64 v[3:4], 4, v[4:5]
	v_sub_nc_u32_e32 v130, v0, v6
	v_add_co_u32 v0, s0, s8, v1
	v_add_co_ci_u32_e64 v1, s0, s9, v2, s0
	v_lshlrev_b32_e32 v2, 4, v130
	v_add_co_u32 v0, s0, v0, v3
	v_add_co_ci_u32_e64 v1, s0, v1, v4, s0
	v_add_co_u32 v46, s0, v0, v2
	v_add_co_ci_u32_e64 v47, s0, 0, v1, s0
                                        ; implicit-def: $vgpr0_vgpr1
	s_clause 0x3
	global_load_dwordx4 v[36:39], v[46:47], off
	global_load_dwordx4 v[100:103], v[46:47], off offset:672
	global_load_dwordx4 v[96:99], v[46:47], off offset:1344
	;; [unrolled: 1-line block ×3, first 2 shown]
	v_add_co_u32 v30, s0, 0x800, v46
	v_add_co_ci_u32_e64 v31, s0, 0, v47, s0
	v_add_co_u32 v54, s0, 0x1000, v46
	v_add_co_ci_u32_e64 v55, s0, 0, v47, s0
	;; [unrolled: 2-line block ×3, first 2 shown]
	s_clause 0x8
	global_load_dwordx4 v[68:71], v[30:31], off offset:640
	global_load_dwordx4 v[56:59], v[30:31], off offset:1312
	;; [unrolled: 1-line block ×9, first 2 shown]
	v_cmpx_gt_u32_e32 3, v130
; %bb.12:
	s_clause 0x7
	global_load_dwordx4 v[0:3], v[46:47], off offset:624
	global_load_dwordx4 v[92:95], v[46:47], off offset:1296
	;; [unrolled: 1-line block ×8, first 2 shown]
	v_add_co_u32 v44, s0, 0x2000, v46
	v_add_co_ci_u32_e64 v45, s0, 0, v47, s0
	s_clause 0x4
	global_load_dwordx4 v[76:79], v[54:55], off offset:1904
	global_load_dwordx4 v[60:63], v[50:51], off offset:528
	;; [unrolled: 1-line block ×5, first 2 shown]
; %bb.13:
	s_or_b32 exec_lo, exec_lo, s4
.LBB0_14:
	s_or_b32 exec_lo, exec_lo, s1
	s_waitcnt vmcnt(0)
	v_add_f64 v[109:110], v[102:103], -v[6:7]
	s_mov_b32 s4, 0x42a4c3d2
	s_mov_b32 s5, 0xbfea55e2
	v_add_f64 v[105:106], v[4:5], v[100:101]
	v_add_f64 v[111:112], v[98:99], -v[18:19]
	v_add_f64 v[125:126], v[100:101], v[36:37]
	v_add_f64 v[134:135], v[92:93], v[0:1]
	s_mov_b32 s8, 0x1ea71119
	s_mov_b32 s6, 0x2ef20147
	;; [unrolled: 1-line block ×10, first 2 shown]
	v_add_f64 v[107:108], v[16:17], v[96:97]
	v_add_f64 v[121:122], v[90:91], -v[22:23]
	s_mov_b32 s14, 0xb2365da1
	s_mov_b32 s22, 0xebaa3ed8
	;; [unrolled: 1-line block ×3, first 2 shown]
	v_mul_f64 v[115:116], v[109:110], s[4:5]
	v_mul_f64 v[119:120], v[109:110], s[16:17]
	;; [unrolled: 1-line block ×6, first 2 shown]
	v_add_f64 v[125:126], v[96:97], v[125:126]
	v_add_f64 v[134:135], v[84:85], v[134:135]
	s_mov_b32 s30, 0xd0032e0c
	s_mov_b32 s24, 0x4267c47c
	;; [unrolled: 1-line block ×13, first 2 shown]
	v_add_f64 v[136:137], v[20:21], v[88:89]
	v_fma_f64 v[144:145], v[105:106], s[8:9], v[115:116]
	v_mul_f64 v[140:141], v[111:112], s[18:19]
	v_mul_f64 v[142:143], v[111:112], s[26:27]
	v_fma_f64 v[146:147], v[105:106], s[22:23], v[119:120]
	v_mul_f64 v[148:149], v[111:112], s[36:37]
	v_fma_f64 v[150:151], v[105:106], s[14:15], v[113:114]
	v_fma_f64 v[152:153], v[105:106], s[30:31], v[117:118]
	v_add_f64 v[154:155], v[70:71], -v[26:27]
	v_mul_f64 v[156:157], v[111:112], s[28:29]
	v_fma_f64 v[158:159], v[105:106], s[34:35], v[123:124]
	v_mul_f64 v[160:161], v[121:122], s[18:19]
	v_fma_f64 v[113:114], v[105:106], s[14:15], -v[113:114]
	v_fma_f64 v[117:118], v[105:106], s[30:31], -v[117:118]
	v_fma_f64 v[166:167], v[107:108], s[14:15], v[138:139]
	v_add_f64 v[125:126], v[88:89], v[125:126]
	v_add_f64 v[134:135], v[80:81], v[134:135]
	s_mov_b32 s40, 0xe00740e9
	s_mov_b32 s39, 0x3fedeba7
	;; [unrolled: 1-line block ×4, first 2 shown]
	v_fma_f64 v[123:124], v[105:106], s[34:35], -v[123:124]
	v_mul_f64 v[162:163], v[121:122], s[38:39]
	v_add_f64 v[144:145], v[36:37], v[144:145]
	v_mul_f64 v[164:165], v[121:122], s[28:29]
	v_fma_f64 v[168:169], v[107:108], s[34:35], v[140:141]
	v_fma_f64 v[170:171], v[107:108], s[30:31], v[142:143]
	v_add_f64 v[146:147], v[36:37], v[146:147]
	v_fma_f64 v[172:173], v[107:108], s[22:23], v[148:149]
	v_add_f64 v[150:151], v[36:37], v[150:151]
	v_add_f64 v[152:153], v[36:37], v[152:153]
	v_mul_f64 v[174:175], v[121:122], s[4:5]
	v_fma_f64 v[176:177], v[107:108], s[40:41], v[156:157]
	v_add_f64 v[158:159], v[36:37], v[158:159]
	v_add_f64 v[178:179], v[24:25], v[68:69]
	v_fma_f64 v[142:143], v[107:108], s[30:31], -v[142:143]
	v_add_f64 v[113:114], v[36:37], v[113:114]
	v_fma_f64 v[148:149], v[107:108], s[22:23], -v[148:149]
	v_add_f64 v[184:185], v[36:37], v[117:118]
	v_mul_f64 v[186:187], v[154:155], s[26:27]
	v_add_f64 v[125:126], v[68:69], v[125:126]
	v_add_f64 v[117:118], v[44:45], v[92:93]
	;; [unrolled: 1-line block ×3, first 2 shown]
	v_fma_f64 v[156:157], v[107:108], s[40:41], -v[156:157]
	v_add_f64 v[123:124], v[36:37], v[123:124]
	v_add_f64 v[144:145], v[166:167], v[144:145]
	v_fma_f64 v[166:167], v[136:137], s[34:35], v[160:161]
	v_mul_f64 v[182:183], v[121:122], s[20:21]
	v_mul_f64 v[198:199], v[109:110], s[24:25]
	v_add_f64 v[146:147], v[168:169], v[146:147]
	v_fma_f64 v[168:169], v[136:137], s[14:15], v[162:163]
	v_add_f64 v[150:151], v[170:171], v[150:151]
	v_add_f64 v[152:153], v[172:173], v[152:153]
	v_fma_f64 v[170:171], v[136:137], s[40:41], v[164:165]
	v_fma_f64 v[172:173], v[136:137], s[8:9], v[174:175]
	v_add_f64 v[158:159], v[176:177], v[158:159]
	v_mul_f64 v[176:177], v[154:155], s[16:17]
	v_fma_f64 v[174:175], v[136:137], s[8:9], -v[174:175]
	v_add_f64 v[142:143], v[142:143], v[113:114]
	v_add_f64 v[113:114], v[94:95], -v[46:47]
	v_add_f64 v[148:149], v[148:149], v[184:185]
	v_add_f64 v[134:135], v[48:49], v[84:85]
	;; [unrolled: 1-line block ×3, first 2 shown]
	v_mul_f64 v[109:110], v[117:118], s[40:41]
	v_add_f64 v[192:193], v[64:65], v[192:193]
	s_mov_b32 s45, 0x3fcea1e5
	s_mov_b32 s44, s18
	;; [unrolled: 1-line block ×3, first 2 shown]
	v_add_f64 v[144:145], v[166:167], v[144:145]
	v_fma_f64 v[166:167], v[178:179], s[30:31], v[186:187]
	s_mov_b32 s42, s4
	v_add_f64 v[180:181], v[58:59], -v[42:43]
	v_mul_f64 v[188:189], v[154:155], s[28:29]
	v_add_f64 v[123:124], v[156:157], v[123:124]
	v_mul_f64 v[156:157], v[154:155], s[44:45]
	v_fma_f64 v[190:191], v[136:137], s[30:31], v[182:183]
	v_fma_f64 v[182:183], v[136:137], s[30:31], -v[182:183]
	v_fma_f64 v[164:165], v[136:137], s[40:41], -v[164:165]
	v_mul_f64 v[184:185], v[154:155], s[42:43]
	v_add_f64 v[168:169], v[168:169], v[146:147]
	v_add_f64 v[150:151], v[170:171], v[150:151]
	;; [unrolled: 1-line block ×3, first 2 shown]
	v_fma_f64 v[172:173], v[178:179], s[22:23], v[176:177]
	v_add_f64 v[174:175], v[174:175], v[148:149]
	v_fma_f64 v[148:149], v[105:106], s[8:9], -v[115:116]
	v_fma_f64 v[119:120], v[105:106], s[22:23], -v[119:120]
	v_mul_f64 v[202:203], v[111:112], s[4:5]
	v_add_f64 v[125:126], v[8:9], v[125:126]
	v_fma_f64 v[204:205], v[113:114], s[24:25], v[109:110]
	v_add_f64 v[115:116], v[86:87], -v[50:51]
	v_mul_f64 v[111:112], v[134:135], s[8:9]
	v_add_f64 v[144:145], v[166:167], v[144:145]
	v_fma_f64 v[166:167], v[105:106], s[40:41], v[198:199]
	v_add_f64 v[146:147], v[52:53], v[80:81]
	v_fma_f64 v[105:106], v[105:106], s[40:41], -v[198:199]
	v_add_f64 v[192:193], v[28:29], v[192:193]
	v_fma_f64 v[194:195], v[178:179], s[40:41], v[188:189]
	v_add_f64 v[196:197], v[40:41], v[56:57]
	v_mul_f64 v[170:171], v[180:181], s[36:37]
	v_add_f64 v[123:124], v[182:183], v[123:124]
	v_fma_f64 v[182:183], v[178:179], s[34:35], v[156:157]
	v_add_f64 v[142:143], v[164:165], v[142:143]
	v_fma_f64 v[164:165], v[178:179], s[8:9], v[184:185]
	v_fma_f64 v[184:185], v[178:179], s[8:9], -v[184:185]
	v_fma_f64 v[176:177], v[178:179], s[22:23], -v[176:177]
	v_add_f64 v[172:173], v[172:173], v[150:151]
	v_fma_f64 v[150:151], v[178:179], s[34:35], -v[156:157]
	v_fma_f64 v[138:139], v[107:108], s[14:15], -v[138:139]
	v_add_f64 v[198:199], v[36:37], v[148:149]
	v_fma_f64 v[140:141], v[107:108], s[34:35], -v[140:141]
	v_add_f64 v[208:209], v[36:37], v[119:120]
	v_fma_f64 v[210:211], v[107:108], s[8:9], v[202:203]
	v_mul_f64 v[212:213], v[121:122], s[16:17]
	v_add_f64 v[125:126], v[12:13], v[125:126]
	v_add_f64 v[166:167], v[36:37], v[166:167]
	;; [unrolled: 1-line block ×3, first 2 shown]
	v_fma_f64 v[214:215], v[115:116], s[4:5], v[111:112]
	v_add_f64 v[121:122], v[82:83], -v[54:55]
	v_mul_f64 v[119:120], v[146:147], s[22:23]
	v_add_f64 v[148:149], v[60:61], v[72:73]
	v_fma_f64 v[107:108], v[107:108], s[8:9], -v[202:203]
	v_add_f64 v[36:37], v[36:37], v[105:106]
	v_add_f64 v[105:106], v[32:33], v[192:193]
	;; [unrolled: 1-line block ×3, first 2 shown]
	v_mul_f64 v[190:191], v[180:181], s[4:5]
	v_mul_f64 v[200:201], v[180:181], s[44:45]
	;; [unrolled: 1-line block ×3, first 2 shown]
	v_add_f64 v[168:169], v[194:195], v[168:169]
	v_fma_f64 v[194:195], v[196:197], s[22:23], v[170:171]
	v_add_f64 v[152:153], v[182:183], v[152:153]
	v_mul_f64 v[182:183], v[180:181], s[6:7]
	v_add_f64 v[184:185], v[184:185], v[123:124]
	v_add_f64 v[176:177], v[176:177], v[142:143]
	;; [unrolled: 1-line block ×5, first 2 shown]
	v_fma_f64 v[142:143], v[136:137], s[34:35], -v[160:161]
	v_fma_f64 v[160:161], v[136:137], s[14:15], -v[162:163]
	v_add_f64 v[162:163], v[210:211], v[166:167]
	v_fma_f64 v[166:167], v[136:137], s[22:23], v[212:213]
	v_mul_f64 v[154:155], v[154:155], s[6:7]
	v_add_f64 v[198:199], v[40:41], v[125:126]
	v_add_f64 v[204:205], v[214:215], v[204:205]
	v_fma_f64 v[208:209], v[121:122], s[16:17], v[119:120]
	v_add_f64 v[125:126], v[74:75], -v[62:63]
	v_mul_f64 v[123:124], v[148:149], s[14:15]
	v_add_f64 v[150:151], v[76:77], v[64:65]
	v_fma_f64 v[210:211], v[136:137], s[22:23], -v[212:213]
	v_add_f64 v[36:37], v[107:108], v[36:37]
	v_add_f64 v[105:106], v[76:77], v[105:106]
	v_fma_f64 v[156:157], v[196:197], s[8:9], v[190:191]
	v_add_f64 v[158:159], v[164:165], v[158:159]
	v_add_f64 v[164:165], v[10:11], -v[14:15]
	v_fma_f64 v[216:217], v[196:197], s[34:35], v[200:201]
	v_fma_f64 v[192:193], v[196:197], s[40:41], v[206:207]
	v_add_f64 v[194:195], v[194:195], v[144:145]
	v_fma_f64 v[144:145], v[196:197], s[14:15], v[182:183]
	v_fma_f64 v[186:187], v[178:179], s[30:31], -v[186:187]
	v_add_f64 v[212:213], v[142:143], v[138:139]
	v_add_f64 v[140:141], v[160:161], v[140:141]
	v_fma_f64 v[160:161], v[178:179], s[40:41], -v[188:189]
	v_add_f64 v[162:163], v[166:167], v[162:163]
	v_fma_f64 v[166:167], v[178:179], s[14:15], v[154:155]
	v_mul_f64 v[180:181], v[180:181], s[20:21]
	v_add_f64 v[188:189], v[24:25], v[198:199]
	v_add_f64 v[198:199], v[208:209], v[204:205]
	v_add_f64 v[138:139], v[66:67], -v[78:79]
	v_fma_f64 v[204:205], v[125:126], s[6:7], v[123:124]
	v_mul_f64 v[136:137], v[150:151], s[30:31]
	v_fma_f64 v[154:155], v[178:179], s[14:15], -v[154:155]
	v_add_f64 v[142:143], v[32:33], v[28:29]
	v_add_f64 v[36:37], v[210:211], v[36:37]
	;; [unrolled: 1-line block ×5, first 2 shown]
	v_mul_f64 v[156:157], v[164:165], s[28:29]
	v_add_f64 v[168:169], v[216:217], v[172:173]
	v_mul_f64 v[172:173], v[164:165], s[20:21]
	v_fma_f64 v[182:183], v[196:197], s[14:15], -v[182:183]
	v_fma_f64 v[200:201], v[196:197], s[34:35], -v[200:201]
	v_add_f64 v[152:153], v[192:193], v[152:153]
	v_mul_f64 v[178:179], v[164:165], s[42:43]
	v_fma_f64 v[192:193], v[196:197], s[40:41], -v[206:207]
	v_add_f64 v[158:159], v[144:145], v[158:159]
	v_mul_f64 v[208:209], v[164:165], s[6:7]
	v_mul_f64 v[210:211], v[164:165], s[36:37]
	v_add_f64 v[186:187], v[186:187], v[212:213]
	v_fma_f64 v[170:171], v[196:197], s[22:23], -v[170:171]
	v_add_f64 v[160:161], v[160:161], v[140:141]
	v_fma_f64 v[190:191], v[196:197], s[8:9], -v[190:191]
	v_add_f64 v[162:163], v[166:167], v[162:163]
	v_fma_f64 v[166:167], v[196:197], s[30:31], v[180:181]
	v_mul_f64 v[164:165], v[164:165], s[18:19]
	v_fma_f64 v[180:181], v[196:197], s[30:31], -v[180:181]
	v_add_f64 v[188:189], v[20:21], v[188:189]
	v_add_f64 v[196:197], v[204:205], v[198:199]
	v_fma_f64 v[198:199], v[138:139], s[20:21], v[136:137]
	v_add_f64 v[144:145], v[30:31], -v[34:35]
	v_mul_f64 v[140:141], v[142:143], s[34:35]
	v_add_f64 v[36:37], v[154:155], v[36:37]
	v_add_f64 v[105:106], v[52:53], v[105:106]
	v_fma_f64 v[206:207], v[202:203], s[40:41], v[156:157]
	v_add_f64 v[154:155], v[182:183], v[184:185]
	v_fma_f64 v[182:183], v[202:203], s[30:31], v[172:173]
	;; [unrolled: 2-line block ×4, first 2 shown]
	v_fma_f64 v[178:179], v[202:203], s[8:9], -v[178:179]
	v_fma_f64 v[208:209], v[202:203], s[14:15], -v[208:209]
	v_add_f64 v[170:171], v[170:171], v[186:187]
	v_add_f64 v[160:161], v[190:191], v[160:161]
	v_fma_f64 v[204:205], v[202:203], s[22:23], -v[210:211]
	v_add_f64 v[162:163], v[166:167], v[162:163]
	v_fma_f64 v[166:167], v[202:203], s[34:35], v[164:165]
	v_fma_f64 v[164:165], v[202:203], s[34:35], -v[164:165]
	v_add_f64 v[186:187], v[16:17], v[188:189]
	v_fma_f64 v[156:157], v[202:203], s[40:41], -v[156:157]
	v_add_f64 v[188:189], v[198:199], v[196:197]
	v_fma_f64 v[172:173], v[202:203], s[30:31], -v[172:173]
	v_fma_f64 v[190:191], v[144:145], s[18:19], v[140:141]
	v_add_f64 v[180:181], v[180:181], v[36:37]
	v_add_f64 v[196:197], v[48:49], v[105:106]
	v_fma_f64 v[200:201], v[202:203], s[22:23], v[210:211]
	v_mul_hi_u32 v127, 0xaaaaaaab, v104
	v_add_f64 v[194:195], v[206:207], v[194:195]
	v_add_f64 v[182:183], v[182:183], v[107:108]
	;; [unrolled: 1-line block ×3, first 2 shown]
	v_cmp_gt_u32_e64 s1, 3, v130
	v_add_f64 v[184:185], v[192:193], v[152:153]
	v_add_f64 v[176:177], v[178:179], v[176:177]
	;; [unrolled: 1-line block ×3, first 2 shown]
	v_lshrrev_b32_e32 v127, 1, v127
	v_add_f64 v[153:154], v[204:205], v[154:155]
	v_add_f64 v[162:163], v[166:167], v[162:163]
	v_lshl_add_u32 v36, v127, 1, v127
	v_add_f64 v[166:167], v[4:5], v[186:187]
	v_add_f64 v[155:156], v[156:157], v[170:171]
	;; [unrolled: 1-line block ×3, first 2 shown]
	v_sub_nc_u32_e32 v127, v104, v36
	v_add_f64 v[36:37], v[190:191], v[188:189]
	v_add_f64 v[104:105], v[164:165], v[180:181]
	;; [unrolled: 1-line block ×4, first 2 shown]
	v_mul_u32_u24_e32 v108, 0x222, v127
	v_mad_u32_u24 v127, 0x68, v130, 0
	v_lshl_add_u32 v152, v108, 3, v127
	ds_write2_b64 v152, v[194:195], v[182:183] offset0:2 offset1:3
	ds_write2_b64 v152, v[168:169], v[184:185] offset0:4 offset1:5
	;; [unrolled: 1-line block ×5, first 2 shown]
	ds_write2_b64 v152, v[166:167], v[162:163] offset1:1
	ds_write_b64 v152, v[104:105] offset:96
	s_and_saveexec_b32 s0, s1
	s_cbranch_execz .LBB0_16
; %bb.15:
	v_mul_f64 v[153:154], v[117:118], s[34:35]
	v_mul_f64 v[163:164], v[117:118], s[30:31]
	;; [unrolled: 1-line block ×22, first 2 shown]
	v_fma_f64 v[193:194], v[113:114], s[44:45], v[153:154]
	v_fma_f64 v[153:154], v[113:114], s[18:19], v[153:154]
	;; [unrolled: 1-line block ×10, first 2 shown]
	v_add_f64 v[109:110], v[109:110], -v[155:156]
	v_fma_f64 v[213:214], v[115:116], s[24:25], v[179:180]
	v_fma_f64 v[179:180], v[115:116], s[28:29], v[179:180]
	;; [unrolled: 1-line block ×7, first 2 shown]
	v_add_f64 v[111:112], v[111:112], -v[157:158]
	v_mul_f64 v[205:206], v[148:149], s[40:41]
	v_mul_f64 v[148:149], v[148:149], s[30:31]
	v_fma_f64 v[155:156], v[121:122], s[26:27], v[177:178]
	v_add_f64 v[117:118], v[0:1], v[193:194]
	v_add_f64 v[153:154], v[0:1], v[153:154]
	v_fma_f64 v[193:194], v[115:116], s[16:17], v[189:190]
	v_add_f64 v[203:204], v[0:1], v[203:204]
	v_fma_f64 v[189:190], v[115:116], s[36:37], v[189:190]
	v_add_f64 v[163:164], v[0:1], v[163:164]
	v_add_f64 v[211:212], v[0:1], v[211:212]
	;; [unrolled: 1-line block ×4, first 2 shown]
	v_fma_f64 v[115:116], v[115:116], s[6:7], v[134:135]
	v_add_f64 v[134:135], v[0:1], v[185:186]
	v_add_f64 v[185:186], v[0:1], v[217:218]
	;; [unrolled: 1-line block ×4, first 2 shown]
	v_fma_f64 v[177:178], v[121:122], s[20:21], v[177:178]
	v_fma_f64 v[157:158], v[121:122], s[42:43], v[187:188]
	v_fma_f64 v[187:188], v[121:122], s[4:5], v[187:188]
	v_mul_f64 v[161:162], v[125:126], s[6:7]
	v_add_f64 v[119:120], v[119:120], -v[159:160]
	v_mul_f64 v[181:182], v[150:151], s[40:41]
	v_mul_f64 v[191:192], v[150:151], s[34:35]
	;; [unrolled: 1-line block ×3, first 2 shown]
	v_add_f64 v[117:118], v[213:214], v[117:118]
	v_add_f64 v[153:154], v[179:180], v[153:154]
	v_mul_f64 v[150:151], v[150:151], s[22:23]
	v_add_f64 v[179:180], v[193:194], v[203:204]
	v_fma_f64 v[203:204], v[121:122], s[38:39], v[207:208]
	v_add_f64 v[163:164], v[189:190], v[163:164]
	v_fma_f64 v[189:190], v[121:122], s[24:25], v[197:198]
	;; [unrolled: 2-line block ×4, first 2 shown]
	v_fma_f64 v[207:208], v[121:122], s[44:45], v[146:147]
	v_add_f64 v[209:210], v[209:210], v[215:216]
	v_fma_f64 v[121:122], v[121:122], s[18:19], v[146:147]
	v_add_f64 v[115:116], v[115:116], v[185:186]
	v_add_f64 v[134:135], v[221:222], v[134:135]
	;; [unrolled: 1-line block ×4, first 2 shown]
	v_fma_f64 v[109:110], v[125:126], s[4:5], v[175:176]
	v_fma_f64 v[175:176], v[125:126], s[42:43], v[175:176]
	;; [unrolled: 1-line block ×4, first 2 shown]
	v_add_f64 v[117:118], v[155:156], v[117:118]
	v_add_f64 v[146:147], v[177:178], v[153:154]
	v_fma_f64 v[153:154], v[125:126], s[18:19], v[183:184]
	v_add_f64 v[155:156], v[157:158], v[179:180]
	v_fma_f64 v[157:158], v[125:126], s[44:45], v[183:184]
	v_add_f64 v[159:160], v[187:188], v[163:164]
	v_fma_f64 v[163:164], v[138:139], s[6:7], v[171:172]
	v_fma_f64 v[171:172], v[125:126], s[36:37], v[195:196]
	v_add_f64 v[177:178], v[189:190], v[193:194]
	v_fma_f64 v[179:180], v[125:126], s[16:17], v[195:196]
	v_add_f64 v[173:174], v[197:198], v[173:174]
	v_fma_f64 v[183:184], v[125:126], s[24:25], v[205:206]
	v_fma_f64 v[187:188], v[125:126], s[20:21], v[148:149]
	v_add_f64 v[189:190], v[203:204], v[209:210]
	v_fma_f64 v[125:126], v[125:126], s[26:27], v[148:149]
	v_add_f64 v[115:116], v[121:122], v[115:116]
	v_add_f64 v[134:135], v[199:200], v[134:135]
	;; [unrolled: 1-line block ×3, first 2 shown]
	v_mul_f64 v[165:166], v[138:139], s[20:21]
	v_add_f64 v[121:122], v[123:124], -v[161:162]
	v_add_f64 v[0:1], v[119:120], v[0:1]
	v_mul_f64 v[169:170], v[142:143], s[22:23]
	v_add_f64 v[109:110], v[109:110], v[117:118]
	v_add_f64 v[117:118], v[175:176], v[146:147]
	v_mul_f64 v[119:120], v[142:143], s[14:15]
	v_fma_f64 v[123:124], v[138:139], s[24:25], v[181:182]
	v_add_f64 v[146:147], v[153:154], v[155:156]
	v_fma_f64 v[148:149], v[138:139], s[28:29], v[181:182]
	v_add_f64 v[153:154], v[157:158], v[159:160]
	v_mul_f64 v[155:156], v[142:143], s[8:9]
	v_fma_f64 v[157:158], v[138:139], s[18:19], v[191:192]
	v_add_f64 v[159:160], v[171:172], v[177:178]
	v_fma_f64 v[161:162], v[138:139], s[44:45], v[191:192]
	v_add_f64 v[171:172], v[179:180], v[173:174]
	v_mul_f64 v[173:174], v[142:143], s[30:31]
	v_fma_f64 v[177:178], v[138:139], s[4:5], v[201:202]
	v_add_f64 v[179:180], v[185:186], v[189:190]
	v_mul_f64 v[142:143], v[142:143], s[40:41]
	v_fma_f64 v[181:182], v[138:139], s[36:37], v[150:151]
	v_add_f64 v[115:116], v[125:126], v[115:116]
	v_fma_f64 v[175:176], v[138:139], s[42:43], v[201:202]
	v_add_f64 v[125:126], v[183:184], v[134:135]
	;; [unrolled: 2-line block ×3, first 2 shown]
	v_mul_f64 v[167:168], v[144:145], s[18:19]
	v_add_f64 v[136:137], v[136:137], -v[165:166]
	v_add_f64 v[0:1], v[121:122], v[0:1]
	v_fma_f64 v[121:122], v[144:145], s[16:17], v[169:170]
	v_add_f64 v[109:110], v[111:112], v[109:110]
	v_add_f64 v[117:118], v[163:164], v[117:118]
	;; [unrolled: 1-line block ×4, first 2 shown]
	v_fma_f64 v[148:149], v[144:145], s[4:5], v[155:156]
	v_add_f64 v[150:151], v[157:158], v[159:160]
	v_fma_f64 v[153:154], v[144:145], s[42:43], v[155:156]
	v_add_f64 v[155:156], v[161:162], v[171:172]
	v_fma_f64 v[159:160], v[144:145], s[20:21], v[173:174]
	v_fma_f64 v[111:112], v[144:145], s[36:37], v[169:170]
	v_add_f64 v[161:162], v[177:178], v[179:180]
	v_fma_f64 v[163:164], v[144:145], s[28:29], v[142:143]
	;; [unrolled: 3-line block ×4, first 2 shown]
	v_add_f64 v[113:114], v[134:135], v[113:114]
	v_add_f64 v[134:135], v[140:141], -v[167:168]
	v_add_f64 v[0:1], v[136:137], v[0:1]
	v_add_nc_u32_e32 v127, 0xfd8, v152
	v_add_f64 v[109:110], v[121:122], v[109:110]
	v_add_nc_u32_e32 v131, 0xfe8, v152
	v_add_f64 v[136:137], v[148:149], v[150:151]
	v_add_f64 v[111:112], v[111:112], v[117:118]
	;; [unrolled: 1-line block ×8, first 2 shown]
	v_add_nc_u32_e32 v138, 0x1018, v152
	v_add_f64 v[113:114], v[142:143], v[113:114]
	v_add_nc_u32_e32 v139, 0x1028, v152
	v_add_f64 v[0:1], v[134:135], v[0:1]
	v_add_nc_u32_e32 v134, 0xff8, v152
	v_add_nc_u32_e32 v135, 0x1008, v152
	ds_write2_b64 v127, v[106:107], v[36:37] offset1:1
	ds_write2_b64 v131, v[115:116], v[121:122] offset1:1
	;; [unrolled: 1-line block ×6, first 2 shown]
	ds_write_b64 v152, v[0:1] offset:4152
.LBB0_16:
	s_or_b32 exec_lo, exec_lo, s0
	v_lshlrev_b32_e32 v131, 3, v108
	v_lshlrev_b32_e32 v1, 3, v130
	s_waitcnt lgkmcnt(0)
	s_barrier
	buffer_gl0_inv
	v_cmp_gt_u32_e64 s0, 26, v130
	v_add3_u32 v138, 0, v1, v131
	v_add3_u32 v139, 0, v131, v1
	v_add_nc_u32_e32 v124, 0x800, v138
	v_add_nc_u32_e32 v0, 0x400, v138
	ds_read2_b64 v[108:111], v138 offset0:117 offset1:182
	ds_read2_b64 v[112:115], v138 offset0:39 offset1:78
	;; [unrolled: 1-line block ×5, first 2 shown]
	ds_read_b64 v[134:135], v139
	ds_read_b64 v[136:137], v138 offset:3848
	s_and_saveexec_b32 s4, s0
	s_cbranch_execz .LBB0_18
; %bb.17:
	ds_read2_b64 v[104:107], v0 offset0:28 offset1:210
	ds_read_b64 v[36:37], v138 offset:4160
.LBB0_18:
	s_or_b32 exec_lo, exec_lo, s4
	v_add_f64 v[0:1], v[102:103], v[38:39]
	v_add_f64 v[148:149], v[56:57], -v[40:41]
	v_add_f64 v[40:41], v[94:95], v[2:3]
	v_add_f64 v[100:101], v[100:101], -v[4:5]
	v_add_f64 v[142:143], v[88:89], -v[20:21]
	v_add_f64 v[20:21], v[54:55], v[82:83]
	s_mov_b32 s44, 0x4267c47c
	s_mov_b32 s24, 0x42a4c3d2
	;; [unrolled: 1-line block ×12, first 2 shown]
	v_add_f64 v[102:103], v[6:7], v[102:103]
	v_add_f64 v[96:97], v[96:97], -v[16:17]
	v_add_f64 v[144:145], v[26:27], v[70:71]
	v_add_f64 v[24:25], v[68:69], -v[24:25]
	;; [unrolled: 2-line block ×4, first 2 shown]
	v_add_f64 v[68:69], v[84:85], -v[48:49]
	v_add_f64 v[48:49], v[80:81], -v[52:53]
	v_add_f64 v[12:13], v[62:63], v[74:75]
	v_add_f64 v[16:17], v[72:73], -v[60:61]
	v_add_f64 v[8:9], v[64:65], -v[76:77]
	v_mul_f64 v[64:65], v[100:101], s[44:45]
	v_mul_f64 v[72:73], v[100:101], s[24:25]
	;; [unrolled: 1-line block ×5, first 2 shown]
	s_mov_b32 s4, 0xe00740e9
	s_mov_b32 s6, 0x1ea71119
	;; [unrolled: 1-line block ×8, first 2 shown]
	v_add_f64 v[0:1], v[90:91], v[0:1]
	s_mov_b32 s17, 0xbfe7f3cc
	v_add_f64 v[82:83], v[82:83], v[40:41]
	s_mov_b32 s21, 0xbfef11f4
	s_mov_b32 s37, 0x3fe5384d
	;; [unrolled: 1-line block ×7, first 2 shown]
	v_add_f64 v[98:99], v[18:19], v[98:99]
	v_add_f64 v[140:141], v[22:23], v[90:91]
	;; [unrolled: 1-line block ×5, first 2 shown]
	v_mul_f64 v[86:87], v[96:97], s[24:25]
	v_mul_f64 v[90:91], v[96:97], s[18:19]
	;; [unrolled: 1-line block ×5, first 2 shown]
	v_fma_f64 v[183:184], v[102:103], s[4:5], -v[64:65]
	v_fma_f64 v[64:65], v[102:103], s[4:5], v[64:65]
	v_add_f64 v[0:1], v[70:71], v[0:1]
	v_mul_f64 v[70:71], v[100:101], s[22:23]
	v_add_f64 v[74:75], v[74:75], v[82:83]
	v_mul_f64 v[100:101], v[96:97], s[26:27]
	v_mul_f64 v[96:97], v[96:97], s[30:31]
	v_fma_f64 v[185:186], v[102:103], s[6:7], -v[72:73]
	v_fma_f64 v[72:73], v[102:103], s[6:7], v[72:73]
	v_fma_f64 v[187:188], v[102:103], s[8:9], -v[76:77]
	v_fma_f64 v[76:77], v[102:103], s[8:9], v[76:77]
	;; [unrolled: 2-line block ×4, first 2 shown]
	s_mov_b32 s43, 0x3fedeba7
	s_mov_b32 s42, s18
	v_add_f64 v[146:147], v[42:43], v[58:59]
	v_mul_f64 v[153:154], v[142:143], s[28:29]
	v_mul_f64 v[155:156], v[142:143], s[40:41]
	;; [unrolled: 1-line block ×6, first 2 shown]
	v_add_f64 v[0:1], v[58:59], v[0:1]
	v_fma_f64 v[191:192], v[102:103], s[16:17], -v[70:71]
	v_fma_f64 v[70:71], v[102:103], s[16:17], v[70:71]
	v_add_f64 v[66:67], v[66:67], v[74:75]
	v_mul_f64 v[58:59], v[68:69], s[24:25]
	v_fma_f64 v[102:103], v[98:99], s[6:7], -v[86:87]
	v_fma_f64 v[86:87], v[98:99], s[6:7], v[86:87]
	v_fma_f64 v[193:194], v[98:99], s[14:15], -v[90:91]
	v_fma_f64 v[201:202], v[98:99], s[4:5], -v[96:97]
	v_fma_f64 v[96:97], v[98:99], s[4:5], v[96:97]
	v_add_f64 v[74:75], v[38:39], v[183:184]
	v_fma_f64 v[211:212], v[56:57], s[4:5], -v[60:61]
	v_add_f64 v[64:65], v[38:39], v[64:65]
	v_add_f64 v[185:186], v[38:39], v[185:186]
	;; [unrolled: 1-line block ×8, first 2 shown]
	s_mov_b32 s39, 0x3fcea1e5
	s_mov_b32 s35, 0x3fea55e2
	v_add_f64 v[0:1], v[10:11], v[0:1]
	v_add_f64 v[191:192], v[38:39], v[191:192]
	;; [unrolled: 1-line block ×5, first 2 shown]
	s_mov_b32 s38, s40
	s_mov_b32 s34, s24
	v_mul_f64 v[163:164], v[24:25], s[18:19]
	v_mul_f64 v[165:166], v[24:25], s[36:37]
	v_mul_f64 v[167:168], v[24:25], s[30:31]
	v_mul_f64 v[169:170], v[24:25], s[28:29]
	v_mul_f64 v[171:172], v[24:25], s[38:39]
	v_mul_f64 v[24:25], v[24:25], s[34:35]
	v_mul_f64 v[52:53], v[48:49], s[28:29]
	v_fma_f64 v[90:91], v[98:99], s[14:15], v[90:91]
	v_fma_f64 v[195:196], v[98:99], s[20:21], -v[92:93]
	v_fma_f64 v[92:93], v[98:99], s[20:21], v[92:93]
	v_fma_f64 v[197:198], v[98:99], s[16:17], -v[94:95]
	;; [unrolled: 2-line block ×4, first 2 shown]
	v_add_f64 v[0:1], v[14:15], v[0:1]
	v_fma_f64 v[153:154], v[140:141], s[8:9], v[153:154]
	v_fma_f64 v[203:204], v[140:141], s[20:21], -v[155:156]
	v_fma_f64 v[155:156], v[140:141], s[20:21], v[155:156]
	v_fma_f64 v[205:206], v[140:141], s[14:15], -v[157:158]
	;; [unrolled: 2-line block ×5, first 2 shown]
	v_fma_f64 v[140:141], v[140:141], s[16:17], v[142:143]
	v_add_f64 v[74:75], v[102:103], v[74:75]
	v_fma_f64 v[213:214], v[44:45], s[6:7], -v[58:59]
	v_add_f64 v[211:212], v[2:3], v[211:212]
	v_add_f64 v[64:65], v[86:87], v[64:65]
	;; [unrolled: 1-line block ×5, first 2 shown]
	v_mul_f64 v[173:174], v[148:149], s[22:23]
	v_mul_f64 v[175:176], v[148:149], s[26:27]
	;; [unrolled: 1-line block ×3, first 2 shown]
	v_add_f64 v[0:1], v[42:43], v[0:1]
	v_fma_f64 v[142:143], v[144:145], s[14:15], -v[163:164]
	v_fma_f64 v[42:43], v[144:145], s[14:15], v[163:164]
	v_fma_f64 v[84:85], v[144:145], s[16:17], -v[165:166]
	v_fma_f64 v[102:103], v[144:145], s[16:17], v[165:166]
	;; [unrolled: 2-line block ×3, first 2 shown]
	v_fma_f64 v[167:168], v[144:145], s[8:9], -v[169:170]
	v_add_f64 v[72:73], v[90:91], v[72:73]
	v_add_f64 v[90:91], v[195:196], v[187:188]
	;; [unrolled: 1-line block ×8, first 2 shown]
	v_fma_f64 v[96:97], v[144:145], s[20:21], -v[171:172]
	v_fma_f64 v[98:99], v[144:145], s[20:21], v[171:172]
	v_fma_f64 v[100:101], v[144:145], s[6:7], -v[24:25]
	v_fma_f64 v[24:25], v[144:145], s[6:7], v[24:25]
	v_add_f64 v[171:172], v[213:214], v[211:212]
	v_add_f64 v[64:65], v[153:154], v[64:65]
	;; [unrolled: 1-line block ×3, first 2 shown]
	v_fma_f64 v[26:27], v[144:145], s[8:9], v[169:170]
	v_fma_f64 v[169:170], v[20:21], s[8:9], -v[52:53]
	v_add_f64 v[86:87], v[203:204], v[86:87]
	v_add_f64 v[38:39], v[140:141], v[38:39]
	;; [unrolled: 1-line block ×4, first 2 shown]
	v_mul_f64 v[177:178], v[148:149], s[24:25]
	v_mul_f64 v[179:180], v[148:149], s[38:39]
	;; [unrolled: 1-line block ×3, first 2 shown]
	v_fma_f64 v[144:145], v[146:147], s[16:17], -v[173:174]
	v_add_f64 v[72:73], v[155:156], v[72:73]
	v_add_f64 v[90:91], v[205:206], v[90:91]
	;; [unrolled: 1-line block ×8, first 2 shown]
	v_mul_f64 v[78:79], v[148:149], s[18:19]
	v_fma_f64 v[142:143], v[146:147], s[8:9], -v[175:176]
	v_fma_f64 v[155:156], v[12:13], s[14:15], -v[40:41]
	v_add_f64 v[0:1], v[22:23], v[0:1]
	v_mul_f64 v[22:23], v[8:9], s[22:23]
	v_add_f64 v[157:158], v[169:170], v[171:172]
	v_add_f64 v[42:43], v[42:43], v[64:65]
	;; [unrolled: 1-line block ×6, first 2 shown]
	v_fma_f64 v[140:141], v[146:147], s[16:17], v[173:174]
	v_fma_f64 v[148:149], v[146:147], s[8:9], v[175:176]
	;; [unrolled: 1-line block ×3, first 2 shown]
	v_add_f64 v[72:73], v[102:103], v[72:73]
	v_add_f64 v[84:85], v[163:164], v[90:91]
	;; [unrolled: 1-line block ×8, first 2 shown]
	v_fma_f64 v[74:75], v[146:147], s[4:5], -v[181:182]
	v_fma_f64 v[90:91], v[146:147], s[4:5], v[181:182]
	v_fma_f64 v[92:93], v[146:147], s[14:15], -v[78:79]
	v_add_f64 v[0:1], v[18:19], v[0:1]
	v_add_f64 v[18:19], v[28:29], -v[32:33]
	v_fma_f64 v[28:29], v[146:147], s[20:21], -v[179:180]
	v_fma_f64 v[32:33], v[146:147], s[20:21], v[179:180]
	v_fma_f64 v[78:79], v[146:147], s[14:15], v[78:79]
	v_add_f64 v[94:95], v[14:15], v[10:11]
	v_mul_f64 v[96:97], v[150:151], s[40:41]
	v_mul_f64 v[98:99], v[150:151], s[30:31]
	v_add_f64 v[64:65], v[142:143], v[64:65]
	v_mul_f64 v[102:103], v[150:151], s[34:35]
	v_mul_f64 v[142:143], v[150:151], s[26:27]
	v_add_f64 v[38:39], v[54:55], v[38:39]
	v_add_f64 v[54:55], v[155:156], v[157:158]
	v_fma_f64 v[144:145], v[4:5], s[16:17], -v[22:23]
	v_add_f64 v[10:11], v[34:35], v[30:31]
	v_fma_f64 v[153:154], v[146:147], s[6:7], -v[177:178]
	v_add_f64 v[82:83], v[100:101], v[82:83]
	v_mul_f64 v[100:101], v[150:151], s[22:23]
	v_add_f64 v[42:43], v[140:141], v[42:43]
	v_mul_f64 v[140:141], v[150:151], s[18:19]
	v_add_f64 v[72:73], v[148:149], v[72:73]
	v_add_f64 v[30:31], v[66:67], v[76:77]
	;; [unrolled: 1-line block ×3, first 2 shown]
	v_mul_f64 v[14:15], v[18:19], s[40:41]
	v_add_f64 v[28:29], v[28:29], v[86:87]
	v_add_f64 v[26:27], v[32:33], v[26:27]
	;; [unrolled: 1-line block ×4, first 2 shown]
	v_fma_f64 v[70:71], v[94:95], s[20:21], -v[96:97]
	v_fma_f64 v[74:75], v[94:95], s[20:21], v[96:97]
	v_fma_f64 v[76:77], v[94:95], s[4:5], -v[98:99]
	v_fma_f64 v[78:79], v[94:95], s[4:5], v[98:99]
	;; [unrolled: 2-line block ×3, first 2 shown]
	v_fma_f64 v[98:99], v[94:95], s[8:9], v[142:143]
	v_add_f64 v[38:39], v[50:51], v[38:39]
	v_add_f64 v[50:51], v[144:145], v[54:55]
	;; [unrolled: 1-line block ×4, first 2 shown]
	v_fma_f64 v[80:81], v[94:95], s[16:17], -v[100:101]
	v_fma_f64 v[96:97], v[94:95], s[8:9], -v[142:143]
	;; [unrolled: 1-line block ×3, first 2 shown]
	v_fma_f64 v[82:83], v[94:95], s[16:17], v[100:101]
	v_fma_f64 v[94:95], v[94:95], s[14:15], v[140:141]
	v_add_f64 v[6:7], v[6:7], v[0:1]
	v_fma_f64 v[54:55], v[10:11], s[20:21], -v[14:15]
	s_waitcnt lgkmcnt(0)
	s_barrier
	buffer_gl0_inv
	v_add_f64 v[62:63], v[70:71], v[62:63]
	v_add_f64 v[0:1], v[74:75], v[42:43]
	;; [unrolled: 1-line block ×8, first 2 shown]
	v_add_nc_u32_e32 v26, 39, v130
	v_add_f64 v[70:71], v[80:81], v[84:85]
	v_add_f64 v[66:67], v[96:97], v[66:67]
	;; [unrolled: 1-line block ×5, first 2 shown]
	ds_write2_b64 v152, v[6:7], v[62:63] offset1:1
	ds_write2_b64 v152, v[42:43], v[70:71] offset0:2 offset1:3
	ds_write2_b64 v152, v[72:73], v[32:33] offset0:4 offset1:5
	;; [unrolled: 1-line block ×5, first 2 shown]
	ds_write_b64 v152, v[0:1] offset:96
	v_add_f64 v[24:25], v[54:55], v[50:51]
	s_and_saveexec_b32 s33, s1
	s_cbranch_execz .LBB0_20
; %bb.19:
	v_mul_f64 v[6:7], v[56:57], s[4:5]
	v_mul_f64 v[29:30], v[88:89], s[24:25]
	;; [unrolled: 1-line block ×18, first 2 shown]
	v_add_f64 v[6:7], v[6:7], v[60:61]
	v_fma_f64 v[60:61], v[56:57], s[6:7], -v[29:30]
	v_fma_f64 v[29:30], v[56:57], s[6:7], v[29:30]
	v_fma_f64 v[78:79], v[56:57], s[8:9], -v[31:32]
	v_fma_f64 v[31:32], v[56:57], s[8:9], v[31:32]
	;; [unrolled: 2-line block ×5, first 2 shown]
	v_add_f64 v[46:47], v[46:47], v[58:59]
	v_fma_f64 v[56:57], v[44:45], s[14:15], -v[54:55]
	v_fma_f64 v[54:55], v[44:45], s[14:15], v[54:55]
	v_fma_f64 v[58:59], v[44:45], s[20:21], -v[62:63]
	v_fma_f64 v[62:63], v[44:45], s[20:21], v[62:63]
	v_fma_f64 v[86:87], v[44:45], s[16:17], -v[64:65]
	v_fma_f64 v[64:65], v[44:45], s[16:17], v[64:65]
	v_fma_f64 v[88:89], v[44:45], s[8:9], -v[66:67]
	v_fma_f64 v[66:67], v[44:45], s[8:9], v[66:67]
	v_fma_f64 v[90:91], v[44:45], s[4:5], -v[68:69]
	v_fma_f64 v[44:45], v[44:45], s[4:5], v[68:69]
	v_add_f64 v[6:7], v[2:3], v[6:7]
	v_add_f64 v[60:61], v[2:3], v[60:61]
	;; [unrolled: 1-line block ×12, first 2 shown]
	v_fma_f64 v[50:51], v[20:21], s[20:21], -v[70:71]
	v_fma_f64 v[52:53], v[20:21], s[20:21], v[70:71]
	v_fma_f64 v[70:71], v[20:21], s[14:15], -v[72:73]
	v_fma_f64 v[72:73], v[20:21], s[14:15], v[72:73]
	v_fma_f64 v[84:85], v[20:21], s[4:5], -v[74:75]
	v_fma_f64 v[74:75], v[20:21], s[4:5], v[74:75]
	v_fma_f64 v[92:93], v[20:21], s[6:7], -v[76:77]
	v_fma_f64 v[76:77], v[20:21], s[6:7], v[76:77]
	v_fma_f64 v[94:95], v[20:21], s[16:17], -v[48:49]
	v_fma_f64 v[20:21], v[20:21], s[16:17], v[48:49]
	v_add_f64 v[6:7], v[46:47], v[6:7]
	v_add_f64 v[46:47], v[56:57], v[60:61]
	;; [unrolled: 1-line block ×11, first 2 shown]
	v_mul_f64 v[44:45], v[12:13], s[14:15]
	v_mul_f64 v[60:61], v[16:17], s[36:37]
	;; [unrolled: 1-line block ×7, first 2 shown]
	v_add_f64 v[6:7], v[42:43], v[6:7]
	v_add_f64 v[42:43], v[50:51], v[46:47]
	;; [unrolled: 1-line block ×8, first 2 shown]
	v_mul_f64 v[70:71], v[8:9], s[24:25]
	v_add_f64 v[52:53], v[94:95], v[58:59]
	v_add_f64 v[2:3], v[20:21], v[2:3]
	;; [unrolled: 1-line block ×3, first 2 shown]
	v_fma_f64 v[40:41], v[12:13], s[16:17], -v[60:61]
	v_fma_f64 v[44:45], v[12:13], s[16:17], v[60:61]
	v_fma_f64 v[54:55], v[12:13], s[4:5], -v[62:63]
	v_fma_f64 v[56:57], v[12:13], s[4:5], v[62:63]
	;; [unrolled: 2-line block ×5, first 2 shown]
	v_mul_f64 v[16:17], v[4:5], s[16:17]
	v_mul_f64 v[72:73], v[8:9], s[38:39]
	;; [unrolled: 1-line block ×4, first 2 shown]
	v_add_f64 v[38:39], v[76:77], v[38:39]
	v_add_f64 v[6:7], v[20:21], v[6:7]
	;; [unrolled: 1-line block ×9, first 2 shown]
	v_fma_f64 v[48:49], v[4:5], s[6:7], -v[70:71]
	v_add_f64 v[46:47], v[66:67], v[52:53]
	v_add_f64 v[2:3], v[12:13], v[2:3]
	;; [unrolled: 1-line block ×3, first 2 shown]
	v_fma_f64 v[16:17], v[4:5], s[8:9], -v[68:69]
	v_fma_f64 v[22:23], v[4:5], s[8:9], v[68:69]
	v_fma_f64 v[50:51], v[4:5], s[6:7], v[70:71]
	v_fma_f64 v[52:53], v[4:5], s[20:21], -v[72:73]
	v_fma_f64 v[54:55], v[4:5], s[20:21], v[72:73]
	v_fma_f64 v[56:57], v[4:5], s[4:5], -v[74:75]
	;; [unrolled: 2-line block ×3, first 2 shown]
	v_fma_f64 v[4:5], v[4:5], s[14:15], v[8:9]
	v_mul_f64 v[8:9], v[18:19], s[30:31]
	v_mul_f64 v[62:63], v[18:19], s[22:23]
	v_add_f64 v[38:39], v[64:65], v[38:39]
	v_mul_f64 v[64:65], v[18:19], s[34:35]
	v_mul_f64 v[66:67], v[18:19], s[18:19]
	;; [unrolled: 1-line block ×4, first 2 shown]
	v_add_f64 v[6:7], v[12:13], v[6:7]
	v_add_f64 v[12:13], v[16:17], v[20:21]
	;; [unrolled: 1-line block ×10, first 2 shown]
	v_fma_f64 v[4:5], v[10:11], s[4:5], -v[8:9]
	v_fma_f64 v[42:43], v[10:11], s[16:17], -v[62:63]
	v_fma_f64 v[8:9], v[10:11], s[4:5], v[8:9]
	v_fma_f64 v[44:45], v[10:11], s[6:7], -v[64:65]
	v_fma_f64 v[48:49], v[10:11], s[14:15], -v[66:67]
	v_fma_f64 v[46:47], v[10:11], s[6:7], v[64:65]
	v_fma_f64 v[50:51], v[10:11], s[8:9], -v[18:19]
	v_fma_f64 v[18:19], v[10:11], s[8:9], v[18:19]
	v_add_f64 v[38:39], v[58:59], v[38:39]
	v_fma_f64 v[52:53], v[10:11], s[14:15], v[66:67]
	v_fma_f64 v[10:11], v[10:11], s[16:17], v[62:63]
	v_add_f64 v[14:15], v[68:69], v[14:15]
	v_add_f64 v[4:5], v[4:5], v[12:13]
	;; [unrolled: 1-line block ×12, first 2 shown]
	v_mul_u32_u24_e32 v14, 0x68, v26
	v_add3_u32 v14, 0, v14, v131
	ds_write2_b64 v14, v[27:28], v[24:25] offset1:1
	ds_write2_b64 v14, v[4:5], v[12:13] offset0:2 offset1:3
	ds_write2_b64 v14, v[16:17], v[29:30] offset0:4 offset1:5
	ds_write2_b64 v14, v[31:32], v[2:3] offset0:6 offset1:7
	ds_write2_b64 v14, v[18:19], v[20:21] offset0:8 offset1:9
	ds_write2_b64 v14, v[10:11], v[8:9] offset0:10 offset1:11
	ds_write_b64 v14, v[6:7] offset:96
.LBB0_20:
	s_or_b32 exec_lo, exec_lo, s33
	v_add_nc_u32_e32 v3, 0x800, v138
	v_add_nc_u32_e32 v2, 0x400, v138
	s_waitcnt lgkmcnt(0)
	s_barrier
	buffer_gl0_inv
	ds_read2_b64 v[4:7], v138 offset0:117 offset1:182
	ds_read2_b64 v[12:15], v3 offset0:43 offset1:108
	;; [unrolled: 1-line block ×5, first 2 shown]
	ds_read_b64 v[29:30], v139
	ds_read_b64 v[31:32], v138 offset:3848
	s_and_saveexec_b32 s1, s0
	s_cbranch_execz .LBB0_22
; %bb.21:
	ds_read2_b64 v[0:3], v2 offset0:28 offset1:210
	ds_read_b64 v[24:25], v138 offset:4160
	s_waitcnt lgkmcnt(1)
	v_mov_b32_e32 v28, v3
	v_mov_b32_e32 v27, v2
.LBB0_22:
	s_or_b32 exec_lo, exec_lo, s1
	v_add_nc_u16 v2, v130, 0x4e
	v_and_b32_e32 v3, 0xff, v130
	v_add_nc_u16 v33, v130, 0x75
	v_and_b32_e32 v34, 0xff, v26
	s_mov_b32 s4, 0xe8584caa
	v_and_b32_e32 v35, 0xff, v2
	v_mul_lo_u16 v3, 0x4f, v3
	v_and_b32_e32 v38, 0xff, v33
	v_mul_lo_u16 v34, 0x4f, v34
	s_mov_b32 s5, 0xbfebb67a
	v_mul_lo_u16 v35, 0x4f, v35
	v_lshrrev_b16 v97, 10, v3
	v_mul_lo_u16 v3, 0x4f, v38
	v_lshrrev_b16 v98, 10, v34
	v_mov_b32_e32 v38, 5
	v_lshrrev_b16 v35, 10, v35
	v_mul_lo_u16 v34, v97, 13
	v_lshrrev_b16 v99, 10, v3
	v_mul_lo_u16 v3, v98, 13
	s_mov_b32 s7, 0x3febb67a
	v_mul_lo_u16 v39, v35, 13
	v_sub_nc_u16 v100, v130, v34
	v_mul_lo_u16 v34, v99, 13
	v_sub_nc_u16 v101, v26, v3
	s_mov_b32 s6, s4
	v_sub_nc_u16 v102, v2, v39
	v_lshlrev_b32_sdwa v2, v38, v100 dst_sel:DWORD dst_unused:UNUSED_PAD src0_sel:DWORD src1_sel:BYTE_0
	v_sub_nc_u16 v103, v33, v34
	v_lshlrev_b32_sdwa v3, v38, v101 dst_sel:DWORD dst_unused:UNUSED_PAD src0_sel:DWORD src1_sel:BYTE_0
	s_clause 0x1
	global_load_dwordx4 v[50:53], v2, s[12:13] offset:16
	global_load_dwordx4 v[57:60], v2, s[12:13]
	v_lshlrev_b32_sdwa v26, v38, v102 dst_sel:DWORD dst_unused:UNUSED_PAD src0_sel:DWORD src1_sel:BYTE_0
	v_lshlrev_b32_sdwa v2, v38, v103 dst_sel:DWORD dst_unused:UNUSED_PAD src0_sel:DWORD src1_sel:BYTE_0
	s_clause 0x5
	global_load_dwordx4 v[61:64], v3, s[12:13]
	global_load_dwordx4 v[65:68], v3, s[12:13] offset:16
	global_load_dwordx4 v[69:72], v26, s[12:13]
	global_load_dwordx4 v[73:76], v26, s[12:13] offset:16
	;; [unrolled: 2-line block ×3, first 2 shown]
	v_add_nc_u32_e32 v26, 0x9c, v130
	v_and_b32_e32 v2, 0xff, v26
	v_mul_lo_u16 v2, 0x4f, v2
	v_lshrrev_b16 v140, 10, v2
	v_mul_lo_u16 v2, v140, 13
	v_sub_nc_u16 v56, v26, v2
	v_lshlrev_b32_sdwa v2, v38, v56 dst_sel:DWORD dst_unused:UNUSED_PAD src0_sel:DWORD src1_sel:BYTE_0
	s_clause 0x1
	global_load_dwordx4 v[85:88], v2, s[12:13]
	global_load_dwordx4 v[89:92], v2, s[12:13] offset:16
	s_waitcnt vmcnt(0) lgkmcnt(0)
	s_barrier
	buffer_gl0_inv
	v_mul_f64 v[38:39], v[20:21], v[63:64]
	v_mul_f64 v[2:3], v[6:7], v[59:60]
	;; [unrolled: 1-line block ×16, first 2 shown]
	v_fma_f64 v[46:47], v[110:111], v[57:58], v[2:3]
	v_fma_f64 v[48:49], v[118:119], v[50:51], v[33:34]
	;; [unrolled: 1-line block ×8, first 2 shown]
	v_fma_f64 v[6:7], v[6:7], v[57:58], -v[59:60]
	v_fma_f64 v[14:15], v[14:15], v[50:51], -v[52:53]
	;; [unrolled: 1-line block ×8, first 2 shown]
	v_and_b32_e32 v94, 0xffff, v35
	v_mul_f64 v[59:60], v[27:28], v[87:88]
	v_mul_f64 v[62:63], v[106:107], v[87:88]
	;; [unrolled: 1-line block ×4, first 2 shown]
	v_and_b32_e32 v84, 0xffff, v97
	v_add_f64 v[66:67], v[134:135], v[46:47]
	v_add_f64 v[50:51], v[46:47], v[48:49]
	;; [unrolled: 1-line block ×8, first 2 shown]
	v_and_b32_e32 v93, 0xffff, v98
	v_add_f64 v[68:69], v[6:7], -v[14:15]
	v_mov_b32_e32 v61, 3
	v_add_f64 v[78:79], v[20:21], -v[16:17]
	v_mad_u32_u24 v84, 0x138, v84, 0
	v_add_f64 v[82:83], v[22:23], -v[18:19]
	v_mad_u32_u24 v93, 0x138, v93, 0
	v_add_f64 v[87:88], v[12:13], -v[31:32]
	v_and_b32_e32 v95, 0xffff, v99
	v_lshlrev_b32_sdwa v96, v61, v100 dst_sel:DWORD dst_unused:UNUSED_PAD src0_sel:DWORD src1_sel:BYTE_0
	v_fma_f64 v[35:36], v[36:37], v[89:90], v[64:65]
	v_and_b32_e32 v37, 0xffff, v140
	v_fma_f64 v[76:77], v[50:51], -0.5, v[134:135]
	v_fma_f64 v[50:51], v[27:28], v[85:86], -v[62:63]
	v_fma_f64 v[80:81], v[52:53], -0.5, v[112:113]
	v_fma_f64 v[52:53], v[106:107], v[85:86], v[59:60]
	v_fma_f64 v[54:55], v[54:55], -0.5, v[114:115]
	v_add_f64 v[27:28], v[66:67], v[48:49]
	v_fma_f64 v[57:58], v[57:58], -0.5, v[108:109]
	v_add_f64 v[62:63], v[70:71], v[42:43]
	v_add_f64 v[64:65], v[72:73], v[44:45]
	;; [unrolled: 1-line block ×3, first 2 shown]
	v_mad_u32_u24 v59, 0x138, v95, 0
	v_fma_f64 v[70:71], v[68:69], s[4:5], v[76:77]
	v_fma_f64 v[68:69], v[68:69], s[6:7], v[76:77]
	;; [unrolled: 1-line block ×6, first 2 shown]
	v_fma_f64 v[54:55], v[24:25], v[89:90], -v[91:92]
	v_fma_f64 v[80:81], v[87:88], s[4:5], v[57:58]
	v_fma_f64 v[82:83], v[87:88], s[6:7], v[57:58]
	v_lshlrev_b32_sdwa v24, v61, v101 dst_sel:DWORD dst_unused:UNUSED_PAD src0_sel:DWORD src1_sel:BYTE_0
	v_mad_u32_u24 v25, 0x138, v94, 0
	v_add3_u32 v58, v84, v96, v131
	v_lshlrev_b32_sdwa v84, v61, v103 dst_sel:DWORD dst_unused:UNUSED_PAD src0_sel:DWORD src1_sel:BYTE_0
	v_add3_u32 v57, v93, v24, v131
	v_lshlrev_b32_sdwa v24, v61, v102 dst_sel:DWORD dst_unused:UNUSED_PAD src0_sel:DWORD src1_sel:BYTE_0
	v_add3_u32 v59, v59, v84, v131
	v_add3_u32 v60, v25, v24, v131
	ds_write2_b64 v58, v[27:28], v[70:71] offset1:13
	ds_write_b64 v58, v[68:69] offset:208
	ds_write2_b64 v57, v[62:63], v[72:73] offset1:13
	ds_write_b64 v57, v[74:75] offset:208
	;; [unrolled: 2-line block ×4, first 2 shown]
	s_and_saveexec_b32 s1, s0
	s_cbranch_execz .LBB0_24
; %bb.23:
	v_add_f64 v[24:25], v[52:53], v[35:36]
	v_add_f64 v[27:28], v[50:51], -v[54:55]
	v_add_f64 v[62:63], v[104:105], v[52:53]
	v_fma_f64 v[24:25], v[24:25], -0.5, v[104:105]
	v_add_f64 v[62:63], v[62:63], v[35:36]
	v_fma_f64 v[64:65], v[27:28], s[4:5], v[24:25]
	v_fma_f64 v[24:25], v[27:28], s[6:7], v[24:25]
	v_mad_u32_u24 v27, 0x138, v37, 0
	v_lshlrev_b32_sdwa v28, v61, v56 dst_sel:DWORD dst_unused:UNUSED_PAD src0_sel:DWORD src1_sel:BYTE_0
	v_add3_u32 v27, v27, v28, v131
	ds_write2_b64 v27, v[62:63], v[64:65] offset1:13
	ds_write_b64 v27, v[24:25] offset:208
.LBB0_24:
	s_or_b32 exec_lo, exec_lo, s1
	v_add_f64 v[24:25], v[6:7], v[14:15]
	v_add_f64 v[27:28], v[20:21], v[16:17]
	;; [unrolled: 1-line block ×5, first 2 shown]
	v_add_f64 v[46:47], v[46:47], -v[48:49]
	v_add_f64 v[48:49], v[4:5], v[12:13]
	v_add_f64 v[20:21], v[8:9], v[20:21]
	;; [unrolled: 1-line block ×3, first 2 shown]
	v_add_f64 v[42:43], v[33:34], -v[42:43]
	v_add_f64 v[38:39], v[38:39], -v[44:45]
	;; [unrolled: 1-line block ×3, first 2 shown]
	v_add_nc_u32_e32 v33, 0x800, v138
	s_waitcnt lgkmcnt(0)
	s_barrier
	buffer_gl0_inv
	v_fma_f64 v[24:25], v[24:25], -0.5, v[29:30]
	v_fma_f64 v[67:68], v[27:28], -0.5, v[8:9]
	;; [unrolled: 1-line block ×4, first 2 shown]
	v_add_f64 v[63:64], v[65:66], v[14:15]
	ds_read2_b64 v[2:5], v138 offset0:39 offset1:78
	ds_read2_b64 v[6:9], v138 offset0:117 offset1:156
	;; [unrolled: 1-line block ×3, first 2 shown]
	v_add_f64 v[31:32], v[48:49], v[31:32]
	ds_read_b64 v[27:28], v139
	ds_read_b64 v[29:30], v138 offset:4056
	v_add_f64 v[65:66], v[20:21], v[16:17]
	v_add_f64 v[69:70], v[22:23], v[18:19]
	v_fma_f64 v[48:49], v[46:47], s[6:7], v[24:25]
	v_fma_f64 v[46:47], v[46:47], s[4:5], v[24:25]
	ds_read2_b64 v[18:21], v33 offset0:17 offset1:56
	ds_read2_b64 v[14:17], v33 offset0:95 offset1:134
	;; [unrolled: 1-line block ×3, first 2 shown]
	v_fma_f64 v[71:72], v[42:43], s[6:7], v[67:68]
	v_fma_f64 v[42:43], v[42:43], s[4:5], v[67:68]
	;; [unrolled: 1-line block ×6, first 2 shown]
	s_waitcnt lgkmcnt(0)
	s_barrier
	buffer_gl0_inv
	ds_write2_b64 v58, v[63:64], v[48:49] offset1:13
	ds_write_b64 v58, v[46:47] offset:208
	ds_write2_b64 v57, v[65:66], v[71:72] offset1:13
	ds_write_b64 v57, v[42:43] offset:208
	;; [unrolled: 2-line block ×4, first 2 shown]
	s_and_saveexec_b32 s1, s0
	s_cbranch_execz .LBB0_26
; %bb.25:
	v_add_f64 v[31:32], v[50:51], v[54:55]
	v_add_f64 v[34:35], v[52:53], -v[35:36]
	s_mov_b32 s5, 0x3febb67a
	s_mov_b32 s4, 0xe8584caa
	v_fma_f64 v[31:32], v[31:32], -0.5, v[0:1]
	v_add_f64 v[0:1], v[0:1], v[50:51]
	v_fma_f64 v[38:39], v[34:35], s[4:5], v[31:32]
	s_mov_b32 s5, 0xbfebb67a
	v_add_f64 v[0:1], v[0:1], v[54:55]
	v_fma_f64 v[31:32], v[34:35], s[4:5], v[31:32]
	v_mov_b32_e32 v34, 3
	v_mad_u32_u24 v35, 0x138, v37, 0
	v_lshlrev_b32_sdwa v34, v34, v56 dst_sel:DWORD dst_unused:UNUSED_PAD src0_sel:DWORD src1_sel:BYTE_0
	v_add3_u32 v34, v35, v34, v131
	ds_write2_b64 v34, v[0:1], v[38:39] offset1:13
	ds_write_b64 v34, v[31:32] offset:208
.LBB0_26:
	s_or_b32 exec_lo, exec_lo, s1
	v_mul_u32_u24_e32 v0, 6, v130
	s_waitcnt lgkmcnt(0)
	s_barrier
	buffer_gl0_inv
	s_mov_b32 s18, 0x37e14327
	v_lshlrev_b32_e32 v0, 4, v0
	s_mov_b32 s0, 0x36b3c0b5
	s_mov_b32 s22, 0xe976ee23
	;; [unrolled: 1-line block ×4, first 2 shown]
	s_clause 0x5
	global_load_dwordx4 v[34:37], v0, s[12:13] offset:416
	global_load_dwordx4 v[38:41], v0, s[12:13] offset:432
	;; [unrolled: 1-line block ×6, first 2 shown]
	ds_read2_b64 v[58:61], v138 offset0:39 offset1:78
	ds_read2_b64 v[62:65], v138 offset0:117 offset1:156
	;; [unrolled: 1-line block ×6, first 2 shown]
	ds_read_b64 v[0:1], v139
	ds_read_b64 v[31:32], v138 offset:4056
	s_mov_b32 s23, 0x3fe11646
	s_mov_b32 s6, 0x429ad128
	;; [unrolled: 1-line block ×15, first 2 shown]
	s_waitcnt vmcnt(0) lgkmcnt(0)
	s_barrier
	buffer_gl0_inv
	v_mul_f64 v[82:83], v[60:61], v[36:37]
	v_mul_f64 v[86:87], v[64:65], v[40:41]
	;; [unrolled: 1-line block ×22, first 2 shown]
	v_fma_f64 v[4:5], v[4:5], v[34:35], v[82:83]
	v_fma_f64 v[8:9], v[8:9], v[38:39], v[86:87]
	v_mul_f64 v[116:117], v[74:75], v[56:57]
	v_fma_f64 v[24:25], v[24:25], v[46:47], v[94:95]
	v_fma_f64 v[16:17], v[16:17], v[50:51], v[98:99]
	v_mul_f64 v[56:57], v[14:15], v[56:57]
	v_fma_f64 v[12:13], v[12:13], v[42:43], v[90:91]
	v_fma_f64 v[20:21], v[20:21], v[54:55], v[102:103]
	;; [unrolled: 1-line block ×6, first 2 shown]
	v_fma_f64 v[60:61], v[60:61], v[34:35], -v[84:85]
	v_fma_f64 v[64:65], v[64:65], v[38:39], -v[88:89]
	;; [unrolled: 1-line block ×11, first 2 shown]
	v_fma_f64 v[18:19], v[18:19], v[42:43], v[114:115]
	v_fma_f64 v[14:15], v[14:15], v[54:55], v[116:117]
	v_add_f64 v[44:45], v[4:5], v[24:25]
	v_add_f64 v[48:49], v[8:9], v[16:17]
	v_fma_f64 v[42:43], v[74:75], v[54:55], -v[56:57]
	v_add_f64 v[8:9], v[8:9], -v[16:17]
	v_add_f64 v[16:17], v[12:13], v[20:21]
	v_add_f64 v[12:13], v[20:21], -v[12:13]
	v_add_f64 v[4:5], v[4:5], -v[24:25]
	v_add_f64 v[20:21], v[6:7], v[29:30]
	v_add_f64 v[54:55], v[10:11], v[22:23]
	v_add_f64 v[6:7], v[6:7], -v[29:30]
	v_add_f64 v[10:11], v[10:11], -v[22:23]
	v_add_f64 v[46:47], v[60:61], v[80:81]
	v_add_f64 v[50:51], v[64:65], v[76:77]
	v_add_f64 v[52:53], v[64:65], -v[76:77]
	v_add_f64 v[24:25], v[68:69], v[72:73]
	v_add_f64 v[56:57], v[72:73], -v[68:69]
	v_add_f64 v[60:61], v[60:61], -v[80:81]
	v_add_f64 v[62:63], v[34:35], v[31:32]
	v_add_f64 v[29:30], v[34:35], -v[31:32]
	v_add_f64 v[31:32], v[36:37], v[38:39]
	;; [unrolled: 2-line block ×5, first 2 shown]
	v_add_f64 v[42:43], v[48:49], -v[44:45]
	v_add_f64 v[44:45], v[44:45], -v[16:17]
	;; [unrolled: 1-line block ×3, first 2 shown]
	v_add_f64 v[66:67], v[12:13], v[8:9]
	v_add_f64 v[68:69], v[54:55], v[20:21]
	v_add_f64 v[78:79], v[54:55], -v[20:21]
	v_add_f64 v[72:73], v[12:13], -v[8:9]
	;; [unrolled: 1-line block ×3, first 2 shown]
	v_add_f64 v[40:41], v[50:51], v[46:47]
	v_add_f64 v[64:65], v[50:51], -v[46:47]
	v_add_f64 v[46:47], v[46:47], -v[24:25]
	v_add_f64 v[70:71], v[56:57], v[52:53]
	v_add_f64 v[74:75], v[56:57], -v[52:53]
	v_add_f64 v[52:53], v[52:53], -v[60:61]
	;; [unrolled: 1-line block ×3, first 2 shown]
	v_add_f64 v[76:77], v[31:32], v[62:63]
	v_add_f64 v[56:57], v[60:61], -v[56:57]
	v_add_f64 v[20:21], v[20:21], -v[34:35]
	;; [unrolled: 1-line block ×3, first 2 shown]
	v_add_f64 v[16:17], v[16:17], v[38:39]
	v_add_f64 v[38:39], v[18:19], v[22:23]
	v_add_f64 v[86:87], v[18:19], -v[22:23]
	v_add_f64 v[22:23], v[22:23], -v[29:30]
	v_add_f64 v[82:83], v[14:15], v[10:11]
	v_add_f64 v[80:81], v[31:32], -v[62:63]
	v_add_f64 v[62:63], v[62:63], -v[36:37]
	v_add_f64 v[34:35], v[34:35], v[68:69]
	v_add_f64 v[31:32], v[36:37], -v[31:32]
	v_add_f64 v[84:85], v[14:15], -v[10:11]
	v_add_f64 v[10:11], v[10:11], -v[6:7]
	v_add_f64 v[24:25], v[24:25], v[40:41]
	v_mul_f64 v[44:45], v[44:45], s[18:19]
	v_mul_f64 v[46:47], v[46:47], s[18:19]
	v_add_f64 v[40:41], v[70:71], v[60:61]
	v_mul_f64 v[60:61], v[48:49], s[0:1]
	v_mul_f64 v[70:71], v[74:75], s[22:23]
	;; [unrolled: 1-line block ×3, first 2 shown]
	v_add_f64 v[36:37], v[36:37], v[76:77]
	v_add_f64 v[12:13], v[4:5], -v[12:13]
	v_add_f64 v[18:19], v[29:30], -v[18:19]
	v_add_f64 v[4:5], v[66:67], v[4:5]
	v_add_f64 v[27:28], v[27:28], v[16:17]
	v_mul_f64 v[66:67], v[50:51], s[0:1]
	v_add_f64 v[29:30], v[38:39], v[29:30]
	v_mul_f64 v[20:21], v[20:21], s[18:19]
	v_mul_f64 v[38:39], v[86:87], s[22:23]
	;; [unrolled: 1-line block ×3, first 2 shown]
	v_add_f64 v[14:15], v[6:7], -v[14:15]
	v_add_f64 v[2:3], v[2:3], v[34:35]
	v_add_f64 v[6:7], v[82:83], v[6:7]
	v_mul_f64 v[82:83], v[54:55], s[0:1]
	v_mul_f64 v[68:69], v[72:73], s[22:23]
	;; [unrolled: 1-line block ×7, first 2 shown]
	v_add_f64 v[90:91], v[0:1], v[24:25]
	v_fma_f64 v[0:1], v[48:49], s[0:1], v[44:45]
	v_fma_f64 v[48:49], v[50:51], s[0:1], v[46:47]
	v_fma_f64 v[50:51], v[42:43], s[14:15], -v[60:61]
	v_fma_f64 v[42:43], v[42:43], s[16:17], -v[44:45]
	;; [unrolled: 1-line block ×3, first 2 shown]
	v_fma_f64 v[46:47], v[56:57], s[20:21], v[70:71]
	v_add_f64 v[58:59], v[58:59], v[36:37]
	v_fma_f64 v[16:17], v[16:17], s[8:9], v[27:28]
	v_fma_f64 v[52:53], v[52:53], s[6:7], -v[70:71]
	v_fma_f64 v[56:57], v[56:57], s[24:25], -v[74:75]
	;; [unrolled: 1-line block ×3, first 2 shown]
	v_fma_f64 v[54:55], v[54:55], s[0:1], v[20:21]
	v_fma_f64 v[66:67], v[18:19], s[20:21], v[38:39]
	v_fma_f64 v[22:23], v[22:23], s[6:7], -v[38:39]
	v_fma_f64 v[18:19], v[18:19], s[24:25], -v[76:77]
	v_fma_f64 v[34:35], v[34:35], s[8:9], v[2:3]
	v_fma_f64 v[20:21], v[78:79], s[16:17], -v[20:21]
	v_fma_f64 v[38:39], v[78:79], s[14:15], -v[82:83]
	;; [unrolled: 3-line block ×3, first 2 shown]
	v_fma_f64 v[31:32], v[31:32], s[0:1], v[62:63]
	v_fma_f64 v[68:69], v[80:81], s[14:15], -v[86:87]
	v_fma_f64 v[70:71], v[14:15], s[20:21], v[84:85]
	v_fma_f64 v[10:11], v[10:11], s[6:7], -v[84:85]
	;; [unrolled: 2-line block ×3, first 2 shown]
	v_fma_f64 v[14:15], v[14:15], s[24:25], -v[88:89]
	v_fma_f64 v[46:47], v[40:41], s[4:5], v[46:47]
	v_fma_f64 v[36:37], v[36:37], s[8:9], v[58:59]
	v_add_f64 v[0:1], v[0:1], v[16:17]
	v_fma_f64 v[52:53], v[40:41], s[4:5], v[52:53]
	v_fma_f64 v[40:41], v[40:41], s[4:5], v[56:57]
	v_add_f64 v[42:43], v[42:43], v[16:17]
	v_add_f64 v[16:17], v[50:51], v[16:17]
	v_fma_f64 v[50:51], v[29:30], s[4:5], v[66:67]
	v_fma_f64 v[22:23], v[29:30], s[4:5], v[22:23]
	;; [unrolled: 1-line block ×3, first 2 shown]
	v_add_f64 v[29:30], v[54:55], v[34:35]
	v_add_f64 v[20:21], v[20:21], v[34:35]
	;; [unrolled: 1-line block ×3, first 2 shown]
	v_fma_f64 v[38:39], v[4:5], s[4:5], v[64:65]
	v_fma_f64 v[8:9], v[4:5], s[4:5], v[8:9]
	;; [unrolled: 1-line block ×3, first 2 shown]
	v_add_nc_u32_e32 v72, 0x400, v138
	v_fma_f64 v[12:13], v[6:7], s[4:5], v[70:71]
	v_fma_f64 v[10:11], v[6:7], s[4:5], v[10:11]
	v_add_f64 v[48:49], v[48:49], v[24:25]
	v_add_f64 v[44:45], v[44:45], v[24:25]
	;; [unrolled: 1-line block ×3, first 2 shown]
	v_fma_f64 v[6:7], v[6:7], s[4:5], v[14:15]
	v_add_f64 v[14:15], v[31:32], v[36:37]
	v_add_f64 v[31:32], v[68:69], v[36:37]
	;; [unrolled: 1-line block ×5, first 2 shown]
	v_add_f64 v[60:61], v[16:17], -v[52:53]
	v_add_f64 v[16:17], v[52:53], v[16:17]
	v_add_f64 v[40:41], v[42:43], -v[40:41]
	v_add_f64 v[0:1], v[0:1], -v[46:47]
	v_add_f64 v[42:43], v[50:51], v[29:30]
	v_add_f64 v[46:47], v[18:19], v[20:21]
	v_add_f64 v[52:53], v[34:35], -v[22:23]
	v_add_f64 v[22:23], v[22:23], v[34:35]
	v_add_f64 v[18:19], v[20:21], -v[18:19]
	v_add_f64 v[20:21], v[29:30], -v[50:51]
	ds_write2_b64 v138, v[27:28], v[54:55] offset1:39
	ds_write2_b64 v138, v[56:57], v[60:61] offset0:78 offset1:117
	ds_write2_b64 v138, v[16:17], v[40:41] offset0:156 offset1:195
	;; [unrolled: 1-line block ×6, first 2 shown]
	v_add_f64 v[34:35], v[48:49], -v[38:39]
	v_add_f64 v[50:51], v[44:45], -v[4:5]
	v_add_f64 v[62:63], v[8:9], v[24:25]
	v_add_f64 v[64:65], v[24:25], -v[8:9]
	v_add_f64 v[44:45], v[4:5], v[44:45]
	v_add_f64 v[38:39], v[38:39], v[48:49]
	v_add_f64 v[48:49], v[14:15], -v[12:13]
	v_add_f64 v[66:67], v[36:37], -v[6:7]
	v_add_f64 v[68:69], v[10:11], v[31:32]
	v_add_f64 v[31:32], v[31:32], -v[10:11]
	v_add_f64 v[36:37], v[6:7], v[36:37]
	v_add_f64 v[70:71], v[12:13], v[14:15]
	s_waitcnt lgkmcnt(0)
	s_barrier
	buffer_gl0_inv
	ds_read2_b64 v[20:23], v33 offset0:17 offset1:56
	ds_read2_b64 v[8:11], v138 offset0:39 offset1:78
	;; [unrolled: 1-line block ×6, first 2 shown]
	ds_read_b64 v[24:25], v139
	ds_read_b64 v[29:30], v138 offset:4056
	s_waitcnt lgkmcnt(0)
	s_barrier
	buffer_gl0_inv
	ds_write2_b64 v138, v[90:91], v[34:35] offset1:39
	ds_write2_b64 v138, v[50:51], v[62:63] offset0:78 offset1:117
	ds_write2_b64 v138, v[64:65], v[44:45] offset0:156 offset1:195
	;; [unrolled: 1-line block ×6, first 2 shown]
	s_waitcnt lgkmcnt(0)
	s_barrier
	buffer_gl0_inv
	s_and_saveexec_b32 s0, vcc_lo
	s_cbranch_execz .LBB0_28
; %bb.27:
	v_mov_b32_e32 v28, 0
	v_add_nc_u32_e32 v27, 0xea, v130
	v_add_nc_u32_e32 v31, 0xc3, v130
	v_mul_hi_u32 v91, 0xe01e01e1, v130
	v_add_nc_u32_e32 v92, 39, v130
	v_mov_b32_e32 v32, v28
	v_lshlrev_b64 v[33:34], 4, v[27:28]
	v_mov_b32_e32 v131, v28
	v_mul_lo_u32 v89, s3, v132
	v_mul_lo_u32 v90, s2, v133
	v_lshlrev_b64 v[31:32], 4, v[31:32]
	v_mul_hi_u32 v98, 0xe01e01e1, v92
	v_add_co_u32 v27, vcc_lo, s12, v33
	v_add_co_ci_u32_e32 v33, vcc_lo, s13, v34, vcc_lo
	v_add_co_u32 v34, vcc_lo, s12, v31
	v_add_co_ci_u32_e32 v36, vcc_lo, s13, v32, vcc_lo
	v_add_co_u32 v31, vcc_lo, 0x1000, v27
	v_lshlrev_b64 v[39:40], 4, v[130:131]
	v_add_co_ci_u32_e32 v32, vcc_lo, 0, v33, vcc_lo
	v_add_co_u32 v35, vcc_lo, 0x1000, v34
	v_mov_b32_e32 v27, v28
	v_add_co_ci_u32_e32 v36, vcc_lo, 0, v36, vcc_lo
	v_add_co_u32 v39, vcc_lo, s12, v39
	v_add_co_ci_u32_e32 v40, vcc_lo, s13, v40, vcc_lo
	v_lshlrev_b64 v[26:27], 4, v[26:27]
	v_add_co_u32 v51, vcc_lo, 0x1000, v39
	v_add_co_ci_u32_e32 v52, vcc_lo, 0, v40, vcc_lo
	s_clause 0x1
	global_load_dwordx4 v[31:34], v[31:32], off offset:64
	global_load_dwordx4 v[35:38], v[35:36], off offset:64
	v_add_co_u32 v26, vcc_lo, s12, v26
	v_add_co_ci_u32_e32 v27, vcc_lo, s13, v27, vcc_lo
	s_clause 0x1
	global_load_dwordx4 v[39:42], v[51:52], off offset:688
	global_load_dwordx4 v[43:46], v[51:52], off offset:64
	;; [unrolled: 5-line block ×3, first 2 shown]
	global_load_dwordx4 v[55:58], v[26:27], off offset:64
	v_mad_u64_u32 v[26:27], null, s2, v132, 0
	v_sub_nc_u32_e32 v101, v130, v91
	v_add_nc_u32_e32 v93, 0x4e, v130
	v_add_nc_u32_e32 v94, 0x75, v130
	v_sub_nc_u32_e32 v103, v92, v98
	v_add_nc_u32_e32 v95, 0x9c, v130
	v_lshrrev_b32_e32 v101, 1, v101
	v_add3_u32 v27, v27, v90, v89
	v_add_nc_u32_e32 v96, 0xc3, v130
	v_add_nc_u32_e32 v97, 0xea, v130
	v_mul_hi_u32 v99, 0xe01e01e1, v93
	v_mul_hi_u32 v100, 0xe01e01e1, v94
	v_lshlrev_b64 v[26:27], 4, v[26:27]
	v_add_nc_u32_e32 v91, v101, v91
	v_lshrrev_b32_e32 v101, 1, v103
	v_lshlrev_b64 v[87:88], 4, v[128:129]
	v_mul_hi_u32 v89, 0xe01e01e1, v95
	v_mul_hi_u32 v90, 0xe01e01e1, v96
	;; [unrolled: 1-line block ×3, first 2 shown]
	v_add_co_u32 v26, vcc_lo, s10, v26
	v_sub_nc_u32_e32 v104, v93, v99
	v_sub_nc_u32_e32 v105, v94, v100
	v_add_co_ci_u32_e32 v27, vcc_lo, s11, v27, vcc_lo
	v_lshrrev_b32_e32 v91, 8, v91
	v_add_nc_u32_e32 v98, v101, v98
	v_add_co_u32 v26, vcc_lo, v26, v87
	v_sub_nc_u32_e32 v106, v95, v89
	v_sub_nc_u32_e32 v107, v96, v90
	;; [unrolled: 1-line block ×3, first 2 shown]
	v_lshrrev_b32_e32 v103, 1, v104
	v_lshrrev_b32_e32 v104, 1, v105
	v_add_co_ci_u32_e32 v121, vcc_lo, v27, v88, vcc_lo
	v_mul_u32_u24_e32 v27, 0x111, v91
	v_lshrrev_b32_e32 v87, 8, v98
	v_lshrrev_b32_e32 v105, 1, v106
	;; [unrolled: 1-line block ×4, first 2 shown]
	v_add_nc_u32_e32 v99, v103, v99
	v_add_nc_u32_e32 v100, v104, v100
	v_sub_nc_u32_e32 v27, v130, v27
	v_mul_u32_u24_e32 v88, 0x111, v87
	v_add_nc_u32_e32 v89, v105, v89
	v_add_nc_u32_e32 v90, v106, v90
	;; [unrolled: 1-line block ×3, first 2 shown]
	v_lshrrev_b32_e32 v98, 8, v99
	v_lshrrev_b32_e32 v99, 8, v100
	v_lshlrev_b32_e32 v102, 4, v27
	v_sub_nc_u32_e32 v27, v92, v88
	v_lshrrev_b32_e32 v103, 8, v89
	v_lshrrev_b32_e32 v122, 8, v90
	v_mul_u32_u24_e32 v89, 0x111, v98
	v_mul_u32_u24_e32 v90, 0x111, v99
	v_mad_u32_u24 v27, 0x222, v87, v27
	v_add_nc_u32_e32 v79, 0x800, v138
	ds_read2_b64 v[59:62], v138 offset0:195 offset1:234
	v_sub_nc_u32_e32 v104, v93, v89
	v_sub_nc_u32_e32 v105, v94, v90
	v_lshlrev_b64 v[89:90], 4, v[27:28]
	v_add_nc_u32_e32 v27, 0x111, v27
	ds_read2_b64 v[63:66], v138 offset0:117 offset1:156
	ds_read2_b64 v[67:70], v138 offset0:39 offset1:78
	ds_read_b64 v[83:84], v138 offset:4056
	ds_read_b64 v[85:86], v139
	ds_read2_b64 v[71:74], v79 offset0:173 offset1:212
	ds_read2_b64 v[75:78], v79 offset0:95 offset1:134
	;; [unrolled: 1-line block ×3, first 2 shown]
	v_lshrrev_b32_e32 v123, 8, v101
	v_mul_u32_u24_e32 v91, 0x111, v103
	v_mul_u32_u24_e32 v100, 0x111, v122
	v_lshlrev_b64 v[93:94], 4, v[27:28]
	v_mad_u32_u24 v27, 0x222, v98, v104
	v_mul_u32_u24_e32 v101, 0x111, v123
	v_sub_nc_u32_e32 v106, v95, v91
	v_sub_nc_u32_e32 v124, v96, v100
	v_add_co_u32 v87, vcc_lo, v26, v102
	v_lshlrev_b64 v[95:96], 4, v[27:28]
	v_add_nc_u32_e32 v27, 0x111, v27
	v_sub_nc_u32_e32 v125, v97, v101
	v_add_co_ci_u32_e32 v88, vcc_lo, 0, v121, vcc_lo
	v_add_co_u32 v91, vcc_lo, 0x1000, v87
	v_lshlrev_b64 v[97:98], 4, v[27:28]
	v_mad_u32_u24 v27, 0x222, v99, v105
	v_add_co_ci_u32_e32 v92, vcc_lo, 0, v88, vcc_lo
	v_add_co_u32 v89, vcc_lo, v26, v89
	v_lshlrev_b64 v[99:100], 4, v[27:28]
	v_add_nc_u32_e32 v27, 0x111, v27
	v_add_co_ci_u32_e32 v90, vcc_lo, v121, v90, vcc_lo
	v_add_co_u32 v93, vcc_lo, v26, v93
	v_lshlrev_b64 v[101:102], 4, v[27:28]
	v_mad_u32_u24 v27, 0x222, v103, v106
	v_add_co_ci_u32_e32 v94, vcc_lo, v121, v94, vcc_lo
	v_add_co_u32 v95, vcc_lo, v26, v95
	v_lshlrev_b64 v[103:104], 4, v[27:28]
	v_add_nc_u32_e32 v27, 0x111, v27
	v_add_co_ci_u32_e32 v96, vcc_lo, v121, v96, vcc_lo
	v_add_co_u32 v97, vcc_lo, v26, v97
	v_lshlrev_b64 v[119:120], 4, v[27:28]
	v_mad_u32_u24 v27, 0x222, v122, v124
	v_add_co_ci_u32_e32 v98, vcc_lo, v121, v98, vcc_lo
	v_add_co_u32 v99, vcc_lo, v26, v99
	v_add_co_ci_u32_e32 v100, vcc_lo, v121, v100, vcc_lo
	v_add_co_u32 v101, vcc_lo, v26, v101
	;; [unrolled: 2-line block ×3, first 2 shown]
	v_add_co_ci_u32_e32 v104, vcc_lo, v121, v104, vcc_lo
	s_waitcnt vmcnt(6)
	v_mul_f64 v[105:106], v[29:30], v[33:34]
	s_waitcnt lgkmcnt(4)
	v_mul_f64 v[33:34], v[83:84], v[33:34]
	s_waitcnt vmcnt(5)
	v_mul_f64 v[107:108], v[14:15], v[37:38]
	s_waitcnt lgkmcnt(2)
	v_mul_f64 v[37:38], v[73:74], v[37:38]
	s_waitcnt vmcnt(4)
	v_mul_f64 v[109:110], v[22:23], v[41:42]
	s_waitcnt vmcnt(3)
	v_mul_f64 v[111:112], v[20:21], v[45:46]
	s_waitcnt lgkmcnt(0)
	v_mul_f64 v[45:46], v[79:80], v[45:46]
	v_mul_f64 v[41:42], v[81:82], v[41:42]
	s_waitcnt vmcnt(2)
	v_mul_f64 v[113:114], v[16:17], v[49:50]
	v_mul_f64 v[49:50], v[75:76], v[49:50]
	s_waitcnt vmcnt(1)
	;; [unrolled: 3-line block ×3, first 2 shown]
	v_mul_f64 v[117:118], v[12:13], v[57:58]
	v_mul_f64 v[57:58], v[71:72], v[57:58]
	v_fma_f64 v[83:84], v[83:84], v[31:32], -v[105:106]
	v_fma_f64 v[29:30], v[29:30], v[31:32], v[33:34]
	v_fma_f64 v[31:32], v[81:82], v[39:40], -v[109:110]
	v_fma_f64 v[33:34], v[79:80], v[43:44], -v[111:112]
	v_fma_f64 v[20:21], v[20:21], v[43:44], v[45:46]
	v_fma_f64 v[39:40], v[22:23], v[39:40], v[41:42]
	v_fma_f64 v[41:42], v[75:76], v[47:48], -v[113:114]
	v_fma_f64 v[43:44], v[16:17], v[47:48], v[49:50]
	v_fma_f64 v[45:46], v[77:78], v[51:52], -v[115:116]
	;; [unrolled: 2-line block ×4, first 2 shown]
	v_fma_f64 v[55:56], v[14:15], v[35:36], v[37:38]
	v_lshlrev_b64 v[57:58], 4, v[27:28]
	v_add_nc_u32_e32 v27, 0x111, v27
	v_add_co_u32 v71, vcc_lo, v26, v119
	v_add_f64 v[14:15], v[61:62], -v[83:84]
	v_add_f64 v[12:13], v[2:3], -v[29:30]
	v_lshlrev_b64 v[73:74], 4, v[27:28]
	v_mad_u32_u24 v27, 0x222, v123, v125
	v_add_co_ci_u32_e32 v72, vcc_lo, v121, v120, vcc_lo
	v_add_f64 v[22:23], v[85:86], -v[33:34]
	v_add_f64 v[20:21], v[24:25], -v[20:21]
	;; [unrolled: 1-line block ×12, first 2 shown]
	v_lshlrev_b64 v[77:78], 4, v[27:28]
	v_add_nc_u32_e32 v27, 0x111, v27
	v_add_co_u32 v75, vcc_lo, v26, v57
	v_add_co_ci_u32_e32 v76, vcc_lo, v121, v58, vcc_lo
	v_fma_f64 v[57:58], v[2:3], 2.0, -v[12:13]
	v_add_co_u32 v73, vcc_lo, v26, v73
	v_add_co_ci_u32_e32 v74, vcc_lo, v121, v74, vcc_lo
	v_fma_f64 v[51:52], v[85:86], 2.0, -v[22:23]
	v_fma_f64 v[49:50], v[24:25], 2.0, -v[20:21]
	;; [unrolled: 1-line block ×13, first 2 shown]
	v_lshlrev_b64 v[0:1], 4, v[27:28]
	v_add_co_u32 v2, vcc_lo, v26, v77
	v_add_co_ci_u32_e32 v3, vcc_lo, v121, v78, vcc_lo
	v_add_co_u32 v0, vcc_lo, v26, v0
	v_add_co_ci_u32_e32 v1, vcc_lo, v121, v1, vcc_lo
	global_store_dwordx4 v[91:92], v[20:23], off offset:272
	global_store_dwordx4 v[87:88], v[49:52], off
	global_store_dwordx4 v[89:90], v[45:48], off
	;; [unrolled: 1-line block ×13, first 2 shown]
.LBB0_28:
	s_endpgm
	.section	.rodata,"a",@progbits
	.p2align	6, 0x0
	.amdhsa_kernel fft_rtc_back_len546_factors_13_3_7_2_wgs_117_tpt_39_halfLds_dp_op_CI_CI_unitstride_sbrr_dirReg
		.amdhsa_group_segment_fixed_size 0
		.amdhsa_private_segment_fixed_size 0
		.amdhsa_kernarg_size 104
		.amdhsa_user_sgpr_count 6
		.amdhsa_user_sgpr_private_segment_buffer 1
		.amdhsa_user_sgpr_dispatch_ptr 0
		.amdhsa_user_sgpr_queue_ptr 0
		.amdhsa_user_sgpr_kernarg_segment_ptr 1
		.amdhsa_user_sgpr_dispatch_id 0
		.amdhsa_user_sgpr_flat_scratch_init 0
		.amdhsa_user_sgpr_private_segment_size 0
		.amdhsa_wavefront_size32 1
		.amdhsa_uses_dynamic_stack 0
		.amdhsa_system_sgpr_private_segment_wavefront_offset 0
		.amdhsa_system_sgpr_workgroup_id_x 1
		.amdhsa_system_sgpr_workgroup_id_y 0
		.amdhsa_system_sgpr_workgroup_id_z 0
		.amdhsa_system_sgpr_workgroup_info 0
		.amdhsa_system_vgpr_workitem_id 0
		.amdhsa_next_free_vgpr 225
		.amdhsa_next_free_sgpr 46
		.amdhsa_reserve_vcc 1
		.amdhsa_reserve_flat_scratch 0
		.amdhsa_float_round_mode_32 0
		.amdhsa_float_round_mode_16_64 0
		.amdhsa_float_denorm_mode_32 3
		.amdhsa_float_denorm_mode_16_64 3
		.amdhsa_dx10_clamp 1
		.amdhsa_ieee_mode 1
		.amdhsa_fp16_overflow 0
		.amdhsa_workgroup_processor_mode 1
		.amdhsa_memory_ordered 1
		.amdhsa_forward_progress 0
		.amdhsa_shared_vgpr_count 0
		.amdhsa_exception_fp_ieee_invalid_op 0
		.amdhsa_exception_fp_denorm_src 0
		.amdhsa_exception_fp_ieee_div_zero 0
		.amdhsa_exception_fp_ieee_overflow 0
		.amdhsa_exception_fp_ieee_underflow 0
		.amdhsa_exception_fp_ieee_inexact 0
		.amdhsa_exception_int_div_zero 0
	.end_amdhsa_kernel
	.text
.Lfunc_end0:
	.size	fft_rtc_back_len546_factors_13_3_7_2_wgs_117_tpt_39_halfLds_dp_op_CI_CI_unitstride_sbrr_dirReg, .Lfunc_end0-fft_rtc_back_len546_factors_13_3_7_2_wgs_117_tpt_39_halfLds_dp_op_CI_CI_unitstride_sbrr_dirReg
                                        ; -- End function
	.section	.AMDGPU.csdata,"",@progbits
; Kernel info:
; codeLenInByte = 15228
; NumSgprs: 48
; NumVgprs: 225
; ScratchSize: 0
; MemoryBound: 1
; FloatMode: 240
; IeeeMode: 1
; LDSByteSize: 0 bytes/workgroup (compile time only)
; SGPRBlocks: 5
; VGPRBlocks: 28
; NumSGPRsForWavesPerEU: 48
; NumVGPRsForWavesPerEU: 225
; Occupancy: 4
; WaveLimiterHint : 1
; COMPUTE_PGM_RSRC2:SCRATCH_EN: 0
; COMPUTE_PGM_RSRC2:USER_SGPR: 6
; COMPUTE_PGM_RSRC2:TRAP_HANDLER: 0
; COMPUTE_PGM_RSRC2:TGID_X_EN: 1
; COMPUTE_PGM_RSRC2:TGID_Y_EN: 0
; COMPUTE_PGM_RSRC2:TGID_Z_EN: 0
; COMPUTE_PGM_RSRC2:TIDIG_COMP_CNT: 0
	.text
	.p2alignl 6, 3214868480
	.fill 48, 4, 3214868480
	.type	__hip_cuid_75d56c2d0a9ff8db,@object ; @__hip_cuid_75d56c2d0a9ff8db
	.section	.bss,"aw",@nobits
	.globl	__hip_cuid_75d56c2d0a9ff8db
__hip_cuid_75d56c2d0a9ff8db:
	.byte	0                               ; 0x0
	.size	__hip_cuid_75d56c2d0a9ff8db, 1

	.ident	"AMD clang version 19.0.0git (https://github.com/RadeonOpenCompute/llvm-project roc-6.4.0 25133 c7fe45cf4b819c5991fe208aaa96edf142730f1d)"
	.section	".note.GNU-stack","",@progbits
	.addrsig
	.addrsig_sym __hip_cuid_75d56c2d0a9ff8db
	.amdgpu_metadata
---
amdhsa.kernels:
  - .args:
      - .actual_access:  read_only
        .address_space:  global
        .offset:         0
        .size:           8
        .value_kind:     global_buffer
      - .offset:         8
        .size:           8
        .value_kind:     by_value
      - .actual_access:  read_only
        .address_space:  global
        .offset:         16
        .size:           8
        .value_kind:     global_buffer
      - .actual_access:  read_only
        .address_space:  global
        .offset:         24
        .size:           8
        .value_kind:     global_buffer
      - .actual_access:  read_only
        .address_space:  global
        .offset:         32
        .size:           8
        .value_kind:     global_buffer
      - .offset:         40
        .size:           8
        .value_kind:     by_value
      - .actual_access:  read_only
        .address_space:  global
        .offset:         48
        .size:           8
        .value_kind:     global_buffer
      - .actual_access:  read_only
        .address_space:  global
        .offset:         56
        .size:           8
        .value_kind:     global_buffer
      - .offset:         64
        .size:           4
        .value_kind:     by_value
      - .actual_access:  read_only
        .address_space:  global
        .offset:         72
        .size:           8
        .value_kind:     global_buffer
      - .actual_access:  read_only
        .address_space:  global
        .offset:         80
        .size:           8
        .value_kind:     global_buffer
      - .actual_access:  read_only
        .address_space:  global
        .offset:         88
        .size:           8
        .value_kind:     global_buffer
      - .actual_access:  write_only
        .address_space:  global
        .offset:         96
        .size:           8
        .value_kind:     global_buffer
    .group_segment_fixed_size: 0
    .kernarg_segment_align: 8
    .kernarg_segment_size: 104
    .language:       OpenCL C
    .language_version:
      - 2
      - 0
    .max_flat_workgroup_size: 117
    .name:           fft_rtc_back_len546_factors_13_3_7_2_wgs_117_tpt_39_halfLds_dp_op_CI_CI_unitstride_sbrr_dirReg
    .private_segment_fixed_size: 0
    .sgpr_count:     48
    .sgpr_spill_count: 0
    .symbol:         fft_rtc_back_len546_factors_13_3_7_2_wgs_117_tpt_39_halfLds_dp_op_CI_CI_unitstride_sbrr_dirReg.kd
    .uniform_work_group_size: 1
    .uses_dynamic_stack: false
    .vgpr_count:     225
    .vgpr_spill_count: 0
    .wavefront_size: 32
    .workgroup_processor_mode: 1
amdhsa.target:   amdgcn-amd-amdhsa--gfx1030
amdhsa.version:
  - 1
  - 2
...

	.end_amdgpu_metadata
